;; amdgpu-corpus repo=ROCm/rocFFT kind=compiled arch=gfx1201 opt=O3
	.text
	.amdgcn_target "amdgcn-amd-amdhsa--gfx1201"
	.amdhsa_code_object_version 6
	.protected	bluestein_single_fwd_len1400_dim1_sp_op_CI_CI ; -- Begin function bluestein_single_fwd_len1400_dim1_sp_op_CI_CI
	.globl	bluestein_single_fwd_len1400_dim1_sp_op_CI_CI
	.p2align	8
	.type	bluestein_single_fwd_len1400_dim1_sp_op_CI_CI,@function
bluestein_single_fwd_len1400_dim1_sp_op_CI_CI: ; @bluestein_single_fwd_len1400_dim1_sp_op_CI_CI
; %bb.0:
	s_load_b128 s[12:15], s[0:1], 0x28
	v_mul_u32_u24_e32 v1, 0x493, v0
	s_mov_b32 s2, exec_lo
	v_mov_b32_e32 v171, 0
	s_delay_alu instid0(VALU_DEP_2) | instskip(NEXT) | instid1(VALU_DEP_1)
	v_lshrrev_b32_e32 v1, 16, v1
	v_add_nc_u32_e32 v170, ttmp9, v1
	s_wait_kmcnt 0x0
	s_delay_alu instid0(VALU_DEP_1)
	v_cmpx_gt_u64_e64 s[12:13], v[170:171]
	s_cbranch_execz .LBB0_39
; %bb.1:
	s_clause 0x1
	s_load_b128 s[4:7], s[0:1], 0x18
	s_load_b64 s[12:13], s[0:1], 0x0
	v_mul_lo_u16 v1, v1, 56
	s_movk_i32 s2, 0xfd7c
	s_mov_b32 s3, -1
	s_delay_alu instid0(VALU_DEP_1) | instskip(NEXT) | instid1(VALU_DEP_1)
	v_sub_nc_u16 v2, v0, v1
	v_and_b32_e32 v211, 0xffff, v2
	s_wait_kmcnt 0x0
	s_load_b128 s[8:11], s[4:5], 0x0
	s_wait_kmcnt 0x0
	v_mad_co_u64_u32 v[0:1], null, s10, v170, 0
	v_mad_co_u64_u32 v[3:4], null, s8, v211, 0
	s_mul_u64 s[4:5], s[8:9], 0x2bc
	s_mul_u64 s[2:3], s[8:9], s[2:3]
	s_delay_alu instid0(SALU_CYCLE_1) | instskip(NEXT) | instid1(VALU_DEP_2)
	s_lshl_b64 s[2:3], s[2:3], 3
	v_mad_co_u64_u32 v[5:6], null, s11, v170, v[1:2]
	s_lshl_b64 s[10:11], s[4:5], 3
	s_delay_alu instid0(VALU_DEP_1) | instskip(SKIP_1) | instid1(VALU_DEP_1)
	v_mad_co_u64_u32 v[6:7], null, s9, v211, v[4:5]
	v_mov_b32_e32 v1, v5
	v_lshlrev_b64_e32 v[0:1], 3, v[0:1]
	s_delay_alu instid0(VALU_DEP_3) | instskip(SKIP_1) | instid1(VALU_DEP_3)
	v_mov_b32_e32 v4, v6
	v_or_b32_e32 v210, 0x1c0, v211
	v_add_co_u32 v18, vcc_lo, s14, v0
	s_delay_alu instid0(VALU_DEP_3) | instskip(SKIP_1) | instid1(VALU_DEP_4)
	v_lshlrev_b64_e32 v[3:4], 3, v[3:4]
	v_add_co_ci_u32_e32 v19, vcc_lo, s15, v1, vcc_lo
	v_mad_co_u64_u32 v[5:6], null, s8, v210, 0
	s_delay_alu instid0(VALU_DEP_3) | instskip(SKIP_1) | instid1(VALU_DEP_3)
	v_add_co_u32 v0, vcc_lo, v18, v3
	s_wait_alu 0xfffd
	v_add_co_ci_u32_e32 v1, vcc_lo, v19, v4, vcc_lo
	s_wait_alu 0xfffe
	s_delay_alu instid0(VALU_DEP_2) | instskip(SKIP_1) | instid1(VALU_DEP_2)
	v_add_co_u32 v3, vcc_lo, v0, s10
	s_wait_alu 0xfffd
	v_add_co_ci_u32_e32 v4, vcc_lo, s11, v1, vcc_lo
	s_delay_alu instid0(VALU_DEP_2) | instskip(SKIP_1) | instid1(VALU_DEP_2)
	v_add_co_u32 v7, vcc_lo, v3, s2
	s_wait_alu 0xfffd
	v_add_co_ci_u32_e32 v8, vcc_lo, s3, v4, vcc_lo
	s_delay_alu instid0(VALU_DEP_2) | instskip(SKIP_2) | instid1(VALU_DEP_3)
	v_mad_co_u64_u32 v[9:10], null, s9, v210, v[6:7]
	v_add_co_u32 v10, vcc_lo, v7, s10
	s_wait_alu 0xfffd
	v_add_co_ci_u32_e32 v11, vcc_lo, s11, v8, vcc_lo
	v_lshlrev_b32_e32 v209, 3, v211
	s_delay_alu instid0(VALU_DEP_3) | instskip(SKIP_3) | instid1(VALU_DEP_3)
	v_add_co_u32 v12, vcc_lo, v10, s2
	v_mov_b32_e32 v6, v9
	s_wait_alu 0xfffd
	v_add_co_ci_u32_e32 v13, vcc_lo, s3, v11, vcc_lo
	v_add_co_u32 v14, vcc_lo, v12, s10
	s_delay_alu instid0(VALU_DEP_3) | instskip(SKIP_1) | instid1(VALU_DEP_3)
	v_lshlrev_b64_e32 v[5:6], 3, v[5:6]
	s_wait_alu 0xfffd
	v_add_co_ci_u32_e32 v15, vcc_lo, s11, v13, vcc_lo
	s_delay_alu instid0(VALU_DEP_3)
	v_add_co_u32 v16, vcc_lo, v14, s2
	s_clause 0x3
	global_load_b64 v[201:202], v209, s[12:13]
	global_load_b64 v[197:198], v209, s[12:13] offset:448
	global_load_b64 v[193:194], v209, s[12:13] offset:896
	;; [unrolled: 1-line block ×3, first 2 shown]
	s_wait_alu 0xfffd
	v_add_co_ci_u32_e32 v17, vcc_lo, s3, v15, vcc_lo
	v_add_co_u32 v5, vcc_lo, v18, v5
	s_wait_alu 0xfffd
	v_add_co_ci_u32_e32 v6, vcc_lo, v19, v6, vcc_lo
	v_add_co_u32 v18, vcc_lo, v16, s10
	s_wait_alu 0xfffd
	v_add_co_ci_u32_e32 v19, vcc_lo, s11, v17, vcc_lo
	s_clause 0x3
	global_load_b64 v[199:200], v209, s[12:13] offset:5600
	global_load_b64 v[195:196], v209, s[12:13] offset:6048
	;; [unrolled: 1-line block ×4, first 2 shown]
	s_clause 0x1
	global_load_b64 v[20:21], v[0:1], off
	global_load_b64 v[22:23], v[5:6], off
	v_add_co_u32 v0, vcc_lo, v18, s2
	s_wait_alu 0xfffd
	v_add_co_ci_u32_e32 v1, vcc_lo, s3, v19, vcc_lo
	global_load_b64 v[154:155], v209, s[12:13] offset:3584
	v_add_co_u32 v5, vcc_lo, v0, s10
	s_wait_alu 0xfffd
	v_add_co_ci_u32_e32 v6, vcc_lo, s11, v1, vcc_lo
	s_clause 0x2
	global_load_b64 v[24:25], v[3:4], off
	global_load_b64 v[8:9], v[7:8], off
	;; [unrolled: 1-line block ×3, first 2 shown]
	v_add_co_u32 v3, vcc_lo, v5, s2
	s_wait_alu 0xfffd
	v_add_co_ci_u32_e32 v4, vcc_lo, s3, v6, vcc_lo
	global_load_b64 v[34:35], v[0:1], off
	v_add_co_u32 v26, vcc_lo, v3, s10
	s_wait_alu 0xfffd
	v_add_co_ci_u32_e32 v27, vcc_lo, s11, v4, vcc_lo
	global_load_b64 v[12:13], v[12:13], off
	v_add_co_u32 v28, vcc_lo, v26, s2
	s_wait_alu 0xfffd
	v_add_co_ci_u32_e32 v29, vcc_lo, s3, v27, vcc_lo
	global_load_b64 v[14:15], v[14:15], off
	v_add_co_u32 v30, vcc_lo, v28, s10
	s_wait_alu 0xfffd
	v_add_co_ci_u32_e32 v31, vcc_lo, s11, v29, vcc_lo
	global_load_b64 v[16:17], v[16:17], off
	v_add_co_u32 v32, vcc_lo, v30, s2
	s_wait_alu 0xfffd
	v_add_co_ci_u32_e32 v33, vcc_lo, s3, v31, vcc_lo
	global_load_b64 v[18:19], v[18:19], off
	v_add_co_u32 v0, vcc_lo, v32, s10
	s_wait_alu 0xfffd
	v_add_co_ci_u32_e32 v1, vcc_lo, s11, v33, vcc_lo
	s_clause 0x1
	global_load_b64 v[183:184], v209, s[12:13] offset:1792
	global_load_b64 v[181:182], v209, s[12:13] offset:7392
	global_load_b64 v[38:39], v[5:6], off
	global_load_b64 v[40:41], v[3:4], off
	s_clause 0x2
	global_load_b64 v[185:186], v209, s[12:13] offset:2240
	global_load_b64 v[177:178], v209, s[12:13] offset:2688
	;; [unrolled: 1-line block ×3, first 2 shown]
	global_load_b64 v[26:27], v[26:27], off
	s_clause 0x2
	global_load_b64 v[179:180], v209, s[12:13] offset:7840
	global_load_b64 v[175:176], v209, s[12:13] offset:8288
	;; [unrolled: 1-line block ×3, first 2 shown]
	v_mad_co_u64_u32 v[36:37], null, 0x1c0, s8, v[0:1]
	s_clause 0x1
	global_load_b64 v[158:159], v209, s[12:13] offset:4032
	global_load_b64 v[160:161], v209, s[12:13] offset:4480
	global_load_b64 v[28:29], v[28:29], off
	global_load_b64 v[30:31], v[30:31], off
	s_clause 0x2
	global_load_b64 v[168:169], v209, s[12:13] offset:9184
	global_load_b64 v[162:163], v209, s[12:13] offset:9632
	global_load_b64 v[156:157], v209, s[12:13] offset:10080
	global_load_b64 v[32:33], v[32:33], off
	global_load_b64 v[42:43], v[0:1], off
	v_add_nc_u32_e32 v7, 0x400, v209
	v_add_nc_u32_e32 v63, 0x1c00, v209
	;; [unrolled: 1-line block ×3, first 2 shown]
	v_add_co_u32 v152, s14, s12, v209
	v_mov_b32_e32 v3, v37
	v_add_co_u32 v0, vcc_lo, v36, s2
	s_wait_alu 0xf1ff
	v_add_co_ci_u32_e64 v153, null, s13, 0, s14
	s_delay_alu instid0(VALU_DEP_3) | instskip(NEXT) | instid1(VALU_DEP_1)
	v_mad_co_u64_u32 v[3:4], null, 0x1c0, s9, v[3:4]
	v_mov_b32_e32 v37, v3
	s_wait_alu 0xfffd
	s_delay_alu instid0(VALU_DEP_1) | instskip(SKIP_2) | instid1(VALU_DEP_2)
	v_add_co_ci_u32_e32 v1, vcc_lo, s3, v37, vcc_lo
	v_add_co_u32 v3, vcc_lo, v0, s10
	s_wait_alu 0xfffd
	v_add_co_ci_u32_e32 v4, vcc_lo, s11, v1, vcc_lo
	global_load_b64 v[44:45], v[0:1], off
	v_add_co_u32 v0, vcc_lo, v3, s2
	s_wait_alu 0xfffd
	v_add_co_ci_u32_e32 v1, vcc_lo, s3, v4, vcc_lo
	global_load_b64 v[46:47], v[3:4], off
	;; [unrolled: 4-line block ×4, first 2 shown]
	v_add_nc_u32_e32 v4, 0x2000, v209
	global_load_b64 v[36:37], v[36:37], off
	v_add_co_u32 v0, vcc_lo, v5, s10
	s_wait_alu 0xfffd
	v_add_co_ci_u32_e32 v1, vcc_lo, s11, v6, vcc_lo
	global_load_b64 v[164:165], v209, s[12:13] offset:4928
	global_load_b64 v[52:53], v[5:6], off
	global_load_b64 v[166:167], v209, s[12:13] offset:10528
	global_load_b64 v[54:55], v[0:1], off
	v_add_nc_u32_e32 v5, 0x1000, v209
	v_add_nc_u32_e32 v3, 0x800, v209
	s_load_b64 s[8:9], s[0:1], 0x38
	s_load_b128 s[4:7], s[6:7], 0x0
	v_add_nc_u32_e32 v6, 0x1800, v209
	v_cmp_gt_u16_e32 vcc_lo, 28, v2
	s_wait_loadcnt 0x27
	v_mul_f32_e32 v56, v21, v202
	v_mul_f32_e32 v57, v20, v202
	s_delay_alu instid0(VALU_DEP_2)
	v_fmac_f32_e32 v56, v20, v201
	s_wait_loadcnt 0x25
	v_mul_f32_e32 v58, v23, v155
	s_wait_loadcnt 0x24
	v_dual_mul_f32 v59, v22, v155 :: v_dual_mul_f32 v20, v25, v200
	s_wait_loadcnt 0x23
	v_mul_f32_e32 v60, v9, v198
	v_mul_f32_e32 v61, v8, v198
	v_fmac_f32_e32 v58, v22, v154
	v_fma_f32 v59, v23, v154, -v59
	v_fmac_f32_e32 v20, v24, v199
	v_fmac_f32_e32 v60, v8, v197
	s_wait_loadcnt 0x22
	v_mul_f32_e32 v8, v11, v196
	v_fma_f32 v57, v21, v201, -v57
	s_delay_alu instid0(VALU_DEP_2) | instskip(SKIP_1) | instid1(VALU_DEP_2)
	v_dual_mul_f32 v21, v24, v200 :: v_dual_fmac_f32 v8, v10, v195
	v_fma_f32 v61, v9, v197, -v61
	v_fma_f32 v21, v25, v199, -v21
	s_wait_loadcnt 0x20
	v_dual_mul_f32 v9, v10, v196 :: v_dual_mul_f32 v22, v12, v194
	s_wait_loadcnt 0x1f
	v_mul_f32_e32 v10, v15, v192
	ds_store_b64 v209, v[20:21] offset:5600
	v_dual_mul_f32 v21, v14, v192 :: v_dual_mul_f32 v20, v13, v194
	v_fma_f32 v9, v11, v195, -v9
	ds_store_2addr_b64 v209, v[56:57], v[60:61] offset1:56
	v_fma_f32 v11, v15, v191, -v21
	v_fma_f32 v21, v13, v193, -v22
	s_wait_loadcnt 0x1e
	v_dual_mul_f32 v13, v16, v190 :: v_dual_fmac_f32 v10, v14, v191
	s_wait_loadcnt 0x1a
	v_mul_f32_e32 v14, v39, v182
	ds_store_2addr_b64 v62, v[8:9], v[10:11] offset0:116 offset1:172
	v_dual_mul_f32 v9, v18, v188 :: v_dual_fmac_f32 v20, v12, v193
	v_mul_f32_e32 v15, v38, v182
	v_mul_f32_e32 v12, v17, v190
	v_mul_f32_e32 v8, v19, v188
	v_mul_f32_e32 v10, v35, v184
	v_fma_f32 v13, v17, v189, -v13
	s_delay_alu instid0(VALU_DEP_4)
	v_dual_mul_f32 v11, v34, v184 :: v_dual_fmac_f32 v12, v16, v189
	s_wait_loadcnt 0x18
	v_mul_f32_e32 v16, v41, v186
	v_dual_mul_f32 v17, v40, v186 :: v_dual_fmac_f32 v8, v18, v187
	v_fma_f32 v9, v19, v187, -v9
	v_fmac_f32_e32 v14, v38, v181
	v_fma_f32 v15, v39, v181, -v15
	v_fmac_f32_e32 v10, v34, v183
	v_fma_f32 v11, v35, v183, -v11
	v_fmac_f32_e32 v16, v40, v185
	v_fma_f32 v17, v41, v185, -v17
	ds_store_2addr_b64 v209, v[20:21], v[12:13] offset0:112 offset1:168
	s_wait_loadcnt 0x14
	v_mul_f32_e32 v12, v26, v180
	v_mul_f32_e32 v18, v27, v180
	s_wait_loadcnt 0xa
	v_mul_f32_e32 v13, v32, v172
	ds_store_2addr_b64 v6, v[8:9], v[14:15] offset0:100 offset1:156
	ds_store_2addr_b64 v7, v[10:11], v[16:17] offset0:96 offset1:152
	v_mul_f32_e32 v10, v31, v176
	v_dual_mul_f32 v11, v30, v176 :: v_dual_mul_f32 v8, v29, v178
	v_fma_f32 v19, v27, v179, -v12
	v_dual_mul_f32 v9, v28, v178 :: v_dual_mul_f32 v12, v33, v172
	v_fmac_f32_e32 v18, v26, v179
	v_fmac_f32_e32 v10, v30, v175
	v_fma_f32 v11, v31, v175, -v11
	s_wait_loadcnt 0x9
	v_mul_f32_e32 v14, v43, v174
	v_dual_mul_f32 v15, v42, v174 :: v_dual_fmac_f32 v8, v28, v177
	v_fma_f32 v9, v29, v177, -v9
	v_fmac_f32_e32 v12, v32, v171
	v_fma_f32 v13, v33, v171, -v13
	v_fmac_f32_e32 v14, v42, v173
	v_fma_f32 v15, v43, v173, -v15
	ds_store_2addr_b64 v63, v[18:19], v[10:11] offset0:84 offset1:140
	s_wait_loadcnt 0x8
	v_mul_f32_e32 v10, v44, v159
	s_wait_loadcnt 0x6
	v_dual_mul_f32 v20, v45, v159 :: v_dual_mul_f32 v11, v48, v161
	s_delay_alu instid0(VALU_DEP_2) | instskip(SKIP_1) | instid1(VALU_DEP_3)
	v_fma_f32 v21, v45, v158, -v10
	v_mul_f32_e32 v10, v49, v161
	v_fmac_f32_e32 v20, v44, v158
	s_delay_alu instid0(VALU_DEP_4) | instskip(SKIP_4) | instid1(VALU_DEP_3)
	v_fma_f32 v11, v49, v160, -v11
	s_wait_loadcnt 0x4
	v_mul_f32_e32 v16, v37, v169
	v_mul_f32_e32 v17, v36, v169
	v_fmac_f32_e32 v10, v48, v160
	v_fmac_f32_e32 v16, v36, v168
	s_delay_alu instid0(VALU_DEP_3)
	v_fma_f32 v17, v37, v168, -v17
	ds_store_2addr_b64 v3, v[8:9], v[12:13] offset0:80 offset1:136
	ds_store_2addr_b64 v4, v[14:15], v[16:17] offset0:68 offset1:124
	s_wait_loadcnt 0x2
	v_dual_mul_f32 v15, v52, v165 :: v_dual_mul_f32 v8, v47, v163
	v_dual_mul_f32 v9, v46, v163 :: v_dual_mul_f32 v12, v51, v157
	v_mul_f32_e32 v13, v50, v157
	v_mul_f32_e32 v14, v53, v165
	s_wait_loadcnt 0x0
	v_mul_f32_e32 v16, v55, v167
	v_mul_f32_e32 v17, v54, v167
	v_fmac_f32_e32 v8, v46, v162
	v_fma_f32 v9, v47, v162, -v9
	v_fmac_f32_e32 v12, v50, v156
	v_fma_f32 v13, v51, v156, -v13
	;; [unrolled: 2-line block ×4, first 2 shown]
	ds_store_2addr_b64 v3, v[58:59], v[20:21] offset0:192 offset1:248
	ds_store_2addr_b64 v4, v[8:9], v[12:13] offset0:180 offset1:236
	;; [unrolled: 1-line block ×3, first 2 shown]
	ds_store_b64 v209, v[16:17] offset:10528
	s_and_saveexec_b32 s14, vcc_lo
	s_cbranch_execz .LBB0_3
; %bb.2:
	v_add_co_u32 v0, s2, v0, s2
	s_wait_alu 0xf1ff
	v_add_co_ci_u32_e64 v1, s2, s3, v1, s2
	s_delay_alu instid0(VALU_DEP_2) | instskip(SKIP_1) | instid1(VALU_DEP_2)
	v_add_co_u32 v8, s2, v0, s10
	s_wait_alu 0xf1ff
	v_add_co_ci_u32_e64 v9, s2, s11, v1, s2
	global_load_b64 v[0:1], v[0:1], off
	s_clause 0x1
	global_load_b64 v[10:11], v[152:153], off offset:5376
	global_load_b64 v[12:13], v[152:153], off offset:10976
	global_load_b64 v[8:9], v[8:9], off
	s_wait_loadcnt 0x2
	v_mul_f32_e32 v14, v1, v11
	s_wait_loadcnt 0x0
	v_dual_mul_f32 v2, v0, v11 :: v_dual_mul_f32 v11, v9, v13
	v_mul_f32_e32 v13, v8, v13
	s_delay_alu instid0(VALU_DEP_3) | instskip(NEXT) | instid1(VALU_DEP_3)
	v_fmac_f32_e32 v14, v0, v10
	v_fma_f32 v15, v1, v10, -v2
	s_delay_alu instid0(VALU_DEP_4) | instskip(NEXT) | instid1(VALU_DEP_4)
	v_fmac_f32_e32 v11, v8, v12
	v_fma_f32 v12, v9, v12, -v13
	ds_store_b64 v209, v[14:15] offset:5376
	ds_store_b64 v209, v[11:12] offset:10976
.LBB0_3:
	s_wait_alu 0xfffe
	s_or_b32 exec_lo, exec_lo, s14
	global_wb scope:SCOPE_SE
	s_wait_dscnt 0x0
	s_wait_kmcnt 0x0
	s_barrier_signal -1
	s_barrier_wait -1
	global_inv scope:SCOPE_SE
	ds_load_2addr_b64 v[35:38], v209 offset1:56
	ds_load_2addr_b64 v[47:50], v5 offset0:188 offset1:244
	ds_load_2addr_b64 v[23:26], v209 offset0:112 offset1:168
	;; [unrolled: 1-line block ×6, first 2 shown]
	v_add_nc_u32_e32 v0, 0x2400, v209
	ds_load_2addr_b64 v[43:46], v4 offset0:12 offset1:68
	ds_load_2addr_b64 v[19:22], v3 offset0:192 offset1:248
	ds_load_2addr_b64 v[31:34], v4 offset0:124 offset1:180
	ds_load_2addr_b64 v[3:6], v5 offset0:48 offset1:104
	ds_load_2addr_b64 v[15:18], v0 offset0:108 offset1:164
                                        ; implicit-def: $vgpr51
                                        ; implicit-def: $vgpr0
	s_and_saveexec_b32 s2, vcc_lo
	s_cbranch_execz .LBB0_5
; %bb.4:
	ds_load_b64 v[0:1], v209 offset:5376
	ds_load_b64 v[51:52], v209 offset:10976
.LBB0_5:
	s_wait_alu 0xfffe
	s_or_b32 exec_lo, exec_lo, s2
	s_wait_dscnt 0x8
	v_dual_sub_f32 v49, v37, v49 :: v_dual_sub_f32 v40, v24, v40
	v_dual_sub_f32 v39, v23, v39 :: v_dual_sub_f32 v62, v26, v42
	;; [unrolled: 1-line block ×3, first 2 shown]
	s_delay_alu instid0(VALU_DEP_3) | instskip(NEXT) | instid1(VALU_DEP_3)
	v_fma_f32 v47, v37, 2.0, -v49
	v_fma_f32 v37, v23, 2.0, -v39
	s_wait_dscnt 0x6
	v_dual_sub_f32 v27, v11, v27 :: v_dual_sub_f32 v66, v14, v30
	s_wait_dscnt 0x4
	v_dual_sub_f32 v65, v13, v29 :: v_dual_sub_f32 v44, v8, v44
	;; [unrolled: 2-line block ×3, first 2 shown]
	v_sub_f32_e32 v15, v3, v15
	s_load_b64 s[2:3], s[0:1], 0x8
	v_add_co_u32 v90, s0, v211, 56
	s_wait_alu 0xf1ff
	v_add_co_ci_u32_e64 v2, null, 0, 0, s0
	v_add_co_u32 v89, s0, 0x70, v211
	v_dual_sub_f32 v50, v38, v50 :: v_dual_lshlrev_b32 v53, 1, v211
	v_fma_f32 v54, v35, 2.0, -v56
	v_fma_f32 v55, v36, 2.0, -v57
	v_dual_sub_f32 v61, v25, v41 :: v_dual_sub_f32 v28, v12, v28
	v_fma_f32 v63, v13, 2.0, -v65
	v_sub_f32_e32 v43, v7, v43
	v_fma_f32 v64, v14, 2.0, -v66
	v_fma_f32 v42, v8, 2.0, -v44
	v_sub_f32_e32 v8, v6, v18
	v_fma_f32 v13, v3, 2.0, -v15
	v_sub_f32_e32 v3, v1, v52
	v_fma_f32 v14, v4, 2.0, -v16
	v_lshlrev_b32_e32 v4, 4, v211
	v_add_co_u32 v88, null, 0xa8, v211
	v_add_co_u32 v92, null, 0xe0, v211
	v_fma_f32 v48, v38, 2.0, -v50
	v_fma_f32 v38, v24, 2.0, -v40
	;; [unrolled: 1-line block ×6, first 2 shown]
	v_dual_sub_f32 v11, v9, v45 :: v_dual_sub_f32 v32, v20, v32
	v_sub_f32_e32 v12, v10, v46
	v_fma_f32 v41, v7, 2.0, -v43
	v_sub_f32_e32 v7, v5, v17
	global_wb scope:SCOPE_SE
	s_wait_kmcnt 0x0
	s_barrier_signal -1
	s_barrier_wait -1
	v_lshlrev_b32_e32 v17, 4, v90
	global_inv scope:SCOPE_SE
	ds_store_b128 v4, v[54:57]
	v_lshlrev_b32_e32 v4, 4, v89
	s_wait_alu 0xf1ff
	v_add_co_ci_u32_e64 v2, null, 0, 0, s0
	v_sub_f32_e32 v2, v0, v51
	v_add_co_u32 v58, null, 0x2a0, v211
	v_fma_f32 v9, v9, 2.0, -v11
	v_dual_sub_f32 v31, v19, v31 :: v_dual_sub_f32 v24, v22, v34
	v_fma_f32 v10, v10, 2.0, -v12
	scratch_store_b32 off, v17, off offset:4 ; 4-byte Folded Spill
	ds_store_b128 v17, v[47:50]
	v_lshlrev_b32_e32 v17, 4, v88
	scratch_store_b32 off, v4, off offset:8 ; 4-byte Folded Spill
	ds_store_b128 v4, v[37:40]
	v_lshlrev_b32_e32 v18, 4, v92
	v_lshlrev_b32_e32 v4, 3, v53
	scratch_store_b32 off, v17, off offset:12 ; 4-byte Folded Spill
	v_fma_f32 v29, v19, 2.0, -v31
	v_fma_f32 v30, v20, 2.0, -v32
	scratch_store_b32 off, v18, off offset:16 ; 4-byte Folded Spill
	v_fma_f32 v0, v0, 2.0, -v2
	v_fma_f32 v1, v1, 2.0, -v3
	v_lshlrev_b32_e32 v54, 1, v90
	v_lshlrev_b32_e32 v55, 1, v89
	;; [unrolled: 1-line block ×3, first 2 shown]
	ds_store_b128 v17, v[59:62]
	v_lshlrev_b32_e32 v57, 1, v92
	ds_store_b128 v18, v[25:28]
	v_add_nc_u32_e32 v108, 0x230, v53
	v_add_nc_u32_e32 v109, 0x2a0, v53
	ds_store_b128 v4, v[63:66] offset:4480
	ds_store_b128 v4, v[41:44] offset:5376
	v_add_nc_u32_e32 v110, 0x310, v53
	ds_store_b128 v4, v[9:12] offset:6272
	v_lshlrev_b32_e32 v52, 1, v210
	v_lshlrev_b32_e32 v10, 4, v210
	v_add_nc_u32_e32 v111, 0x3f0, v53
	v_add_nc_u32_e32 v128, 0x460, v53
	;; [unrolled: 1-line block ×3, first 2 shown]
	v_lshlrev_b32_e32 v9, 4, v58
	v_fma_f32 v21, v21, 2.0, -v23
	v_fma_f32 v22, v22, 2.0, -v24
	;; [unrolled: 1-line block ×4, first 2 shown]
	scratch_store_b32 off, v9, off offset:68 ; 4-byte Folded Spill
	ds_store_b128 v10, v[29:32]
	ds_store_b128 v4, v[21:24] offset:8064
	ds_store_b128 v4, v[13:16] offset:8960
	;; [unrolled: 1-line block ×3, first 2 shown]
	s_and_saveexec_b32 s0, vcc_lo
	s_cbranch_execz .LBB0_7
; %bb.6:
	v_lshlrev_b32_e32 v4, 4, v58
	ds_store_b128 v4, v[0:3]
.LBB0_7:
	s_wait_alu 0xfffe
	s_or_b32 exec_lo, exec_lo, s0
	v_add_nc_u32_e32 v20, 0x1000, v209
	v_add_nc_u32_e32 v12, 0x1800, v209
	v_add_nc_u32_e32 v13, 0x400, v209
	v_add_nc_u32_e32 v22, 0x2000, v209
	v_add_nc_u32_e32 v21, 0x800, v209
	v_add_nc_u32_e32 v40, 0x2400, v209
	global_wb scope:SCOPE_SE
	s_wait_storecnt_dscnt 0x0
	s_barrier_signal -1
	s_barrier_wait -1
	global_inv scope:SCOPE_SE
	ds_load_2addr_b64 v[4:7], v209 offset1:56
	ds_load_2addr_b64 v[28:31], v20 offset0:188 offset1:244
	ds_load_2addr_b64 v[8:11], v209 offset0:112 offset1:168
	;; [unrolled: 1-line block ×11, first 2 shown]
	s_and_saveexec_b32 s0, vcc_lo
	s_cbranch_execz .LBB0_9
; %bb.8:
	ds_load_b64 v[0:1], v209 offset:5376
	ds_load_b64 v[2:3], v209 offset:10976
.LBB0_9:
	s_wait_alu 0xfffe
	s_or_b32 exec_lo, exec_lo, s0
	v_and_b32_e32 v213, 1, v211
	s_delay_alu instid0(VALU_DEP_1)
	v_lshlrev_b32_e32 v59, 3, v213
	global_load_b64 v[203:204], v59, s[2:3]
	v_lshlrev_b32_e32 v58, 1, v58
	scratch_store_b32 off, v58, off         ; 4-byte Folded Spill
	v_and_or_b32 v58, 0x7c, v53, v213
	global_wb scope:SCOPE_SE
	s_wait_storecnt 0x0
	s_wait_loadcnt_dscnt 0x0
	s_barrier_signal -1
	s_barrier_wait -1
	global_inv scope:SCOPE_SE
	v_dual_mul_f32 v58, v29, v204 :: v_dual_lshlrev_b32 v99, 3, v58
	v_and_or_b32 v59, 0xfc, v54, v213
	v_and_or_b32 v60, 0x1fc, v55, v213
	;; [unrolled: 1-line block ×8, first 2 shown]
	v_lshlrev_b32_e32 v98, 3, v59
	v_lshlrev_b32_e32 v97, 3, v60
	;; [unrolled: 1-line block ×3, first 2 shown]
	v_mul_f32_e32 v59, v28, v204
	v_mul_f32_e32 v60, v31, v204
	;; [unrolled: 1-line block ×3, first 2 shown]
	v_and_or_b32 v68, 0x4fc, v128, v213
	v_and_or_b32 v69, 0x5fc, v129, v213
	v_lshlrev_b32_e32 v96, 3, v61
	v_lshlrev_b32_e32 v94, 3, v63
	;; [unrolled: 1-line block ×4, first 2 shown]
	v_mul_f32_e32 v61, v30, v204
	v_mul_f32_e32 v63, v32, v204
	;; [unrolled: 1-line block ×3, first 2 shown]
	v_dual_mul_f32 v72, v51, v204 :: v_dual_fmac_f32 v59, v29, v203
	v_mul_f32_e32 v75, v44, v204
	s_delay_alu instid0(VALU_DEP_4)
	v_dual_mul_f32 v76, v47, v204 :: v_dual_fmac_f32 v63, v33, v203
	v_fma_f32 v29, v30, v203, -v60
	v_fma_f32 v30, v32, v203, -v62
	v_lshlrev_b32_e32 v93, 3, v64
	v_mul_f32_e32 v64, v35, v204
	v_and_or_b32 v67, 0x7fc, v111, v213
	v_dual_mul_f32 v69, v38, v204 :: v_dual_lshlrev_b32 v84, 3, v69
	v_mul_f32_e32 v65, v34, v204
	v_dual_mul_f32 v70, v49, v204 :: v_dual_fmac_f32 v61, v31, v203
	v_mul_f32_e32 v74, v45, v204
	s_delay_alu instid0(VALU_DEP_4) | instskip(SKIP_4) | instid1(VALU_DEP_4)
	v_dual_mul_f32 v78, v41, v204 :: v_dual_fmac_f32 v69, v39, v203
	v_fma_f32 v32, v34, v203, -v64
	v_fma_f32 v34, v36, v203, -v66
	v_lshlrev_b32_e32 v85, 3, v68
	v_dual_mul_f32 v68, v39, v204 :: v_dual_fmac_f32 v75, v45, v203
	v_sub_f32_e32 v32, v10, v32
	v_fma_f32 v45, v46, v203, -v76
	v_mul_f32_e32 v71, v48, v204
	v_mul_f32_e32 v82, v3, v204
	v_dual_mul_f32 v67, v36, v204 :: v_dual_lshlrev_b32 v86, 3, v67
	v_mul_f32_e32 v77, v46, v204
	v_mul_f32_e32 v79, v40, v204
	v_mul_f32_e32 v80, v43, v204
	v_mul_f32_e32 v83, v2, v204
	v_fmac_f32_e32 v67, v37, v203
	v_fma_f32 v36, v38, v203, -v68
	v_fma_f32 v38, v48, v203, -v70
	v_mul_f32_e32 v73, v50, v204
	v_fmac_f32_e32 v71, v49, v203
	v_fma_f32 v48, v50, v203, -v72
	v_fma_f32 v46, v40, v203, -v78
	v_sub_f32_e32 v38, v12, v38
	v_fma_f32 v50, v2, v203, -v82
	v_mul_f32_e32 v81, v42, v204
	v_fma_f32 v28, v28, v203, -v58
	v_fmac_f32_e32 v65, v35, v203
	v_fmac_f32_e32 v73, v51, v203
	v_fma_f32 v44, v44, v203, -v74
	v_dual_fmac_f32 v79, v41, v203 :: v_dual_sub_f32 v40, v14, v48
	v_fma_f32 v49, v42, v203, -v80
	v_dual_fmac_f32 v83, v3, v203 :: v_dual_sub_f32 v46, v20, v46
	v_dual_fmac_f32 v77, v47, v203 :: v_dual_sub_f32 v36, v18, v36
	v_dual_sub_f32 v50, v0, v50 :: v_dual_fmac_f32 v81, v43, v203
	v_sub_f32_e32 v42, v24, v44
	v_dual_sub_f32 v2, v4, v28 :: v_dual_sub_f32 v3, v5, v59
	v_sub_f32_e32 v28, v6, v29
	v_dual_sub_f32 v29, v7, v61 :: v_dual_sub_f32 v30, v8, v30
	;; [unrolled: 2-line block ×3, first 2 shown]
	v_sub_f32_e32 v35, v17, v67
	v_sub_f32_e32 v37, v19, v69
	;; [unrolled: 1-line block ×4, first 2 shown]
	v_dual_sub_f32 v43, v25, v75 :: v_dual_sub_f32 v44, v26, v45
	v_sub_f32_e32 v45, v27, v77
	v_dual_sub_f32 v47, v21, v79 :: v_dual_sub_f32 v58, v22, v49
	v_sub_f32_e32 v59, v23, v81
	v_sub_f32_e32 v51, v1, v83
	v_fma_f32 v4, v4, 2.0, -v2
	v_fma_f32 v5, v5, 2.0, -v3
	;; [unrolled: 1-line block ×26, first 2 shown]
	s_clause 0x3
	scratch_store_b32 off, v99, off offset:64
	scratch_store_b32 off, v98, off offset:60
	;; [unrolled: 1-line block ×4, first 2 shown]
	ds_store_2addr_b64 v99, v[4:5], v[2:3] offset1:2
	ds_store_2addr_b64 v98, v[6:7], v[28:29] offset1:2
	;; [unrolled: 1-line block ×4, first 2 shown]
	s_clause 0x7
	scratch_store_b32 off, v95, off offset:48
	scratch_store_b32 off, v94, off offset:44
	;; [unrolled: 1-line block ×8, first 2 shown]
	ds_store_2addr_b64 v95, v[16:17], v[34:35] offset1:2
	ds_store_2addr_b64 v94, v[18:19], v[36:37] offset1:2
	;; [unrolled: 1-line block ×8, first 2 shown]
	s_and_saveexec_b32 s0, vcc_lo
	s_cbranch_execz .LBB0_11
; %bb.10:
	scratch_load_b32 v0, off, off           ; 4-byte Folded Reload
	s_wait_loadcnt 0x0
	v_and_or_b32 v0, 0x57c, v0, v213
	s_delay_alu instid0(VALU_DEP_1)
	v_lshlrev_b32_e32 v0, 3, v0
	ds_store_2addr_b64 v0, v[48:49], v[50:51] offset1:2
.LBB0_11:
	s_wait_alu 0xfffe
	s_or_b32 exec_lo, exec_lo, s0
	v_add_nc_u32_e32 v16, 0x1000, v209
	v_add_nc_u32_e32 v8, 0x1800, v209
	;; [unrolled: 1-line block ×6, first 2 shown]
	global_wb scope:SCOPE_SE
	s_wait_storecnt_dscnt 0x0
	s_barrier_signal -1
	s_barrier_wait -1
	global_inv scope:SCOPE_SE
	ds_load_2addr_b64 v[0:3], v209 offset1:56
	ds_load_2addr_b64 v[24:27], v16 offset0:188 offset1:244
	ds_load_2addr_b64 v[4:7], v209 offset0:112 offset1:168
	;; [unrolled: 1-line block ×11, first 2 shown]
	s_and_saveexec_b32 s0, vcc_lo
	s_cbranch_execz .LBB0_13
; %bb.12:
	ds_load_b64 v[48:49], v209 offset:5376
	ds_load_b64 v[50:51], v209 offset:10976
.LBB0_13:
	s_wait_alu 0xfffe
	s_or_b32 exec_lo, exec_lo, s0
	v_and_b32_e32 v214, 3, v211
	s_delay_alu instid0(VALU_DEP_1)
	v_lshlrev_b32_e32 v58, 3, v214
	v_and_or_b32 v53, 0x78, v53, v214
	global_load_b64 v[205:206], v58, s[2:3] offset:16
	v_lshlrev_b32_e32 v244, 3, v53
	global_wb scope:SCOPE_SE
	s_wait_loadcnt_dscnt 0x0
	s_barrier_signal -1
	s_barrier_wait -1
	global_inv scope:SCOPE_SE
	v_mul_f32_e32 v53, v24, v206
	v_and_or_b32 v57, 0x3f8, v57, v214
	v_and_or_b32 v59, 0x3f8, v109, v214
	;; [unrolled: 1-line block ×6, first 2 shown]
	v_lshlrev_b32_e32 v240, 3, v57
	v_lshlrev_b32_e32 v238, 3, v59
	;; [unrolled: 1-line block ×3, first 2 shown]
	v_mul_f32_e32 v59, v30, v206
	v_mul_f32_e32 v60, v33, v206
	v_and_or_b32 v56, 0x1f8, v56, v214
	v_and_or_b32 v55, 0x1f8, v55, v214
	v_lshlrev_b32_e32 v236, 3, v52
	v_lshlrev_b32_e32 v235, 3, v61
	;; [unrolled: 1-line block ×3, first 2 shown]
	v_mul_f32_e32 v61, v32, v206
	v_mul_f32_e32 v63, v34, v206
	v_dual_mul_f32 v64, v45, v206 :: v_dual_fmac_f32 v59, v31, v205
	v_fma_f32 v32, v32, v205, -v60
	v_and_or_b32 v54, 0xf8, v54, v214
	s_delay_alu instid0(VALU_DEP_4)
	v_fmac_f32_e32 v63, v35, v205
	v_dual_mul_f32 v52, v25, v206 :: v_dual_lshlrev_b32 v241, 3, v56
	v_and_or_b32 v58, 0x2f8, v108, v214
	v_mul_f32_e32 v56, v29, v206
	v_and_or_b32 v62, 0x4f8, v128, v214
	v_dual_mul_f32 v57, v28, v206 :: v_dual_lshlrev_b32 v242, 3, v55
	v_mul_f32_e32 v65, v44, v206
	v_dual_mul_f32 v66, v47, v206 :: v_dual_fmac_f32 v61, v33, v205
	v_dual_mul_f32 v67, v46, v206 :: v_dual_sub_f32 v32, v12, v32
	v_mul_f32_e32 v68, v41, v206
	v_mul_f32_e32 v74, v39, v206
	v_fma_f32 v44, v44, v205, -v64
	v_mul_f32_e32 v71, v42, v206
	v_mul_f32_e32 v72, v37, v206
	;; [unrolled: 1-line block ×3, first 2 shown]
	v_fma_f32 v24, v24, v205, -v52
	v_lshlrev_b32_e32 v243, 3, v54
	v_mul_f32_e32 v54, v27, v206
	v_fma_f32 v28, v28, v205, -v56
	v_lshlrev_b32_e32 v239, 3, v58
	v_mul_f32_e32 v58, v31, v206
	v_dual_fmac_f32 v55, v27, v205 :: v_dual_lshlrev_b32 v234, 3, v62
	v_dual_mul_f32 v62, v35, v206 :: v_dual_fmac_f32 v57, v29, v205
	v_dual_mul_f32 v70, v43, v206 :: v_dual_fmac_f32 v65, v45, v205
	v_mul_f32_e32 v73, v36, v206
	v_mul_f32_e32 v76, v51, v206
	v_mul_f32_e32 v77, v50, v206
	v_fmac_f32_e32 v53, v25, v205
	v_fma_f32 v45, v46, v205, -v66
	v_fmac_f32_e32 v73, v37, v205
	v_fmac_f32_e32 v67, v47, v205
	v_fma_f32 v46, v36, v205, -v72
	v_fma_f32 v47, v38, v205, -v74
	v_mul_f32_e32 v69, v40, v206
	v_fma_f32 v40, v40, v205, -v68
	v_mul_f32_e32 v75, v38, v206
	v_fma_f32 v26, v26, v205, -v54
	v_fma_f32 v30, v30, v205, -v58
	;; [unrolled: 1-line block ×3, first 2 shown]
	v_sub_f32_e32 v40, v20, v40
	v_fma_f32 v42, v42, v205, -v70
	v_dual_fmac_f32 v75, v39, v205 :: v_dual_sub_f32 v26, v2, v26
	v_fma_f32 v50, v50, v205, -v76
	v_dual_fmac_f32 v77, v51, v205 :: v_dual_sub_f32 v30, v6, v30
	v_dual_sub_f32 v24, v0, v24 :: v_dual_sub_f32 v25, v1, v53
	v_dual_sub_f32 v34, v14, v34 :: v_dual_sub_f32 v29, v5, v57
	v_sub_f32_e32 v36, v8, v44
	v_dual_sub_f32 v44, v16, v46 :: v_dual_fmac_f32 v71, v43, v205
	v_dual_sub_f32 v46, v18, v47 :: v_dual_fmac_f32 v69, v41, v205
	v_dual_sub_f32 v27, v3, v55 :: v_dual_sub_f32 v42, v22, v42
	v_dual_sub_f32 v28, v4, v28 :: v_dual_sub_f32 v31, v7, v59
	;; [unrolled: 1-line block ×3, first 2 shown]
	v_sub_f32_e32 v35, v15, v63
	v_sub_f32_e32 v37, v9, v65
	v_dual_sub_f32 v38, v10, v45 :: v_dual_sub_f32 v39, v11, v67
	v_sub_f32_e32 v41, v21, v69
	v_sub_f32_e32 v43, v23, v71
	;; [unrolled: 1-line block ×5, first 2 shown]
	v_fma_f32 v0, v0, 2.0, -v24
	v_fma_f32 v1, v1, 2.0, -v25
	;; [unrolled: 1-line block ×24, first 2 shown]
	ds_store_2addr_b64 v244, v[0:1], v[24:25] offset1:4
	ds_store_2addr_b64 v243, v[2:3], v[26:27] offset1:4
	;; [unrolled: 1-line block ×12, first 2 shown]
	s_and_saveexec_b32 s0, vcc_lo
	s_cbranch_execz .LBB0_15
; %bb.14:
	scratch_load_b32 v0, off, off           ; 4-byte Folded Reload
	v_fma_f32 v1, v49, 2.0, -v57
	s_wait_loadcnt 0x0
	v_and_or_b32 v2, 0x578, v0, v214
	v_fma_f32 v0, v48, 2.0, -v56
	s_delay_alu instid0(VALU_DEP_2)
	v_lshlrev_b32_e32 v2, 3, v2
	ds_store_2addr_b64 v2, v[0:1], v[56:57] offset1:4
.LBB0_15:
	s_wait_alu 0xfffe
	s_or_b32 exec_lo, exec_lo, s0
	v_and_b32_e32 v17, 7, v211
	global_wb scope:SCOPE_SE
	s_wait_dscnt 0x0
	s_barrier_signal -1
	s_barrier_wait -1
	global_inv scope:SCOPE_SE
	v_lshlrev_b32_e32 v0, 5, v17
	v_cmp_gt_u16_e64 s0, 32, v211
	s_clause 0x1
	global_load_b128 v[4:7], v0, s[2:3] offset:48
	global_load_b128 v[0:3], v0, s[2:3] offset:64
	v_add_nc_u32_e32 v19, 0x1000, v209
	v_add_nc_u32_e32 v18, 0x400, v209
	;; [unrolled: 1-line block ×4, first 2 shown]
	ds_load_2addr_b64 v[34:37], v19 offset0:48 offset1:104
	v_add_nc_u32_e32 v16, 0x1800, v209
	ds_load_2addr_b64 v[60:63], v18 offset0:96 offset1:152
	s_wait_loadcnt_dscnt 0x101
	v_dual_mul_f32 v84, v37, v7 :: v_dual_add_nc_u32 v23, 0x1c00, v209
	v_mul_f32_e32 v85, v36, v7
	ds_load_2addr_b64 v[38:41], v16 offset0:16 offset1:72
	ds_load_2addr_b64 v[42:45], v20 offset0:96 offset1:152
	;; [unrolled: 1-line block ×3, first 2 shown]
	ds_load_2addr_b64 v[12:15], v209 offset1:56
	v_add_nc_u32_e32 v22, 0x2400, v209
	ds_load_2addr_b64 v[50:53], v16 offset0:128 offset1:184
	ds_load_2addr_b64 v[8:11], v209 offset0:112 offset1:168
	v_mul_f32_e32 v30, v35, v7
	s_wait_dscnt 0x6
	v_mul_f32_e32 v58, v62, v5
	v_mul_f32_e32 v59, v34, v7
	v_fma_f32 v36, v36, v6, -v84
	v_fmac_f32_e32 v85, v37, v6
	v_fma_f32 v34, v34, v6, -v30
	v_fmac_f32_e32 v58, v63, v4
	v_fmac_f32_e32 v59, v35, v6
	s_wait_dscnt 0x5
	v_mul_f32_e32 v107, v39, v7
	s_wait_loadcnt_dscnt 0x4
	v_mul_f32_e32 v27, v44, v3
	v_mul_f32_e32 v26, v42, v3
	ds_load_b64 v[54:55], v209 offset:10752
	ds_load_2addr_b64 v[64:67], v19 offset0:160 offset1:216
	ds_load_2addr_b64 v[68:71], v22 offset0:80 offset1:136
	;; [unrolled: 1-line block ×4, first 2 shown]
	v_mul_f32_e32 v29, v63, v5
	v_mul_f32_e32 v80, v41, v1
	v_dual_mul_f32 v32, v40, v1 :: v_dual_mul_f32 v81, v43, v3
	s_wait_dscnt 0x8
	v_mul_f32_e32 v82, v47, v5
	v_mul_f32_e32 v83, v46, v5
	s_wait_dscnt 0x6
	v_dual_mul_f32 v86, v51, v1 :: v_dual_mul_f32 v23, v38, v7
	v_mul_f32_e32 v33, v50, v1
	v_mul_f32_e32 v87, v45, v3
	v_mul_f32_e32 v91, v49, v5
	v_mul_f32_e32 v93, v48, v5
	v_mul_f32_e32 v96, v53, v1
	v_fma_f32 v81, v42, v2, -v81
	v_fmac_f32_e32 v26, v43, v2
	s_wait_dscnt 0x4
	v_mul_f32_e32 v113, v55, v3
	s_wait_dscnt 0x3
	v_mul_f32_e32 v94, v65, v7
	;; [unrolled: 2-line block ×3, first 2 shown]
	v_mul_f32_e32 v95, v64, v7
	s_wait_dscnt 0x1
	v_dual_mul_f32 v28, v68, v3 :: v_dual_mul_f32 v99, v73, v5
	v_dual_mul_f32 v100, v72, v5 :: v_dual_mul_f32 v101, v67, v7
	v_dual_mul_f32 v97, v52, v1 :: v_dual_fmac_f32 v32, v41, v0
	s_wait_dscnt 0x0
	v_dual_mul_f32 v102, v66, v7 :: v_dual_mul_f32 v103, v77, v1
	v_mul_f32_e32 v104, v76, v1
	v_dual_mul_f32 v106, v75, v5 :: v_dual_mul_f32 v25, v54, v3
	v_mul_f32_e32 v22, v74, v5
	v_mul_f32_e32 v112, v79, v1
	v_fma_f32 v62, v62, v4, -v29
	v_fma_f32 v80, v40, v0, -v80
	v_mul_f32_e32 v98, v69, v3
	v_mul_f32_e32 v31, v70, v3
	v_dual_mul_f32 v24, v78, v1 :: v_dual_fmac_f32 v83, v47, v4
	v_fma_f32 v35, v46, v4, -v82
	v_fma_f32 v46, v50, v0, -v86
	v_dual_fmac_f32 v33, v51, v0 :: v_dual_fmac_f32 v28, v69, v2
	v_fma_f32 v82, v44, v2, -v87
	v_dual_fmac_f32 v27, v45, v2 :: v_dual_fmac_f32 v22, v75, v4
	v_fma_f32 v37, v48, v4, -v91
	v_fmac_f32_e32 v93, v49, v4
	v_fma_f32 v40, v64, v6, -v94
	v_dual_fmac_f32 v95, v65, v6 :: v_dual_fmac_f32 v24, v79, v0
	v_fma_f32 v48, v52, v0, -v96
	v_fmac_f32_e32 v97, v53, v0
	;; [unrolled: 4-line block ×3, first 2 shown]
	v_fma_f32 v52, v76, v0, -v103
	v_dual_fmac_f32 v104, v77, v0 :: v_dual_fmac_f32 v23, v39, v6
	v_fma_f32 v67, v70, v2, -v105
	v_fma_f32 v43, v74, v4, -v106
	;; [unrolled: 1-line block ×5, first 2 shown]
	v_dual_fmac_f32 v25, v55, v2 :: v_dual_sub_f32 v50, v80, v81
	v_dual_add_f32 v38, v12, v62 :: v_dual_add_f32 v39, v34, v80
	v_fma_f32 v65, v68, v2, -v98
	v_dual_sub_f32 v68, v58, v26 :: v_dual_sub_f32 v69, v59, v32
	v_dual_sub_f32 v44, v62, v34 :: v_dual_sub_f32 v45, v81, v80
	v_sub_f32_e32 v70, v62, v81
	v_dual_add_f32 v47, v62, v81 :: v_dual_add_f32 v66, v36, v46
	v_dual_sub_f32 v49, v34, v62 :: v_dual_sub_f32 v74, v85, v33
	v_dual_add_f32 v51, v13, v58 :: v_dual_sub_f32 v54, v58, v59
	v_dual_add_f32 v53, v59, v32 :: v_dual_add_f32 v62, v58, v26
	v_dual_sub_f32 v71, v34, v80 :: v_dual_sub_f32 v78, v36, v35
	v_dual_sub_f32 v55, v26, v32 :: v_dual_add_f32 v84, v15, v83
	v_sub_f32_e32 v58, v59, v58
	v_dual_sub_f32 v63, v32, v26 :: v_dual_add_f32 v64, v14, v35
	v_dual_sub_f32 v73, v83, v27 :: v_dual_sub_f32 v76, v82, v46
	v_dual_sub_f32 v75, v35, v36 :: v_dual_add_f32 v86, v85, v33
	v_dual_sub_f32 v79, v46, v82 :: v_dual_sub_f32 v94, v83, v85
	v_dual_add_f32 v98, v83, v27 :: v_dual_add_f32 v101, v8, v37
	v_dual_sub_f32 v99, v33, v27 :: v_dual_add_f32 v124, v10, v41
	v_dual_add_f32 v103, v40, v48 :: v_dual_add_f32 v116, v9, v93
	v_dual_add_f32 v117, v95, v97 :: v_dual_add_f32 v122, v93, v28
	;; [unrolled: 1-line block ×3, first 2 shown]
	v_dual_sub_f32 v131, v67, v52 :: v_dual_sub_f32 v150, v29, v43
	v_dual_add_f32 v135, v11, v100 :: v_dual_add_f32 v216, v49, v50
	v_dual_add_f32 v143, v60, v43 :: v_dual_add_f32 v208, v23, v24
	v_dual_sub_f32 v145, v22, v25 :: v_dual_sub_f32 v212, v43, v72
	v_dual_sub_f32 v147, v43, v29 :: v_dual_add_f32 v218, v58, v63
	v_add_f32_e32 v149, v43, v72
	v_dual_add_f32 v43, v38, v34 :: v_dual_add_f32 v50, v101, v40
	v_fma_f32 v34, -0.5, v39, v12
	v_dual_add_f32 v77, v35, v82 :: v_dual_sub_f32 v112, v65, v48
	v_dual_sub_f32 v87, v35, v82 :: v_dual_sub_f32 v114, v40, v37
	v_dual_sub_f32 v91, v36, v46 :: v_dual_sub_f32 v96, v27, v33
	;; [unrolled: 1-line block ×5, first 2 shown]
	v_dual_add_f32 v113, v37, v65 :: v_dual_add_f32 v136, v102, v104
	v_dual_sub_f32 v115, v48, v65 :: v_dual_sub_f32 v120, v93, v95
	v_dual_sub_f32 v118, v37, v65 :: v_dual_sub_f32 v119, v40, v48
	;; [unrolled: 1-line block ×3, first 2 shown]
	v_dual_sub_f32 v93, v95, v93 :: v_dual_add_f32 v132, v41, v67
	v_dual_sub_f32 v123, v97, v28 :: v_dual_sub_f32 v142, v104, v31
	v_dual_sub_f32 v127, v102, v104 :: v_dual_sub_f32 v148, v72, v30
	;; [unrolled: 1-line block ×4, first 2 shown]
	v_sub_f32_e32 v139, v100, v102
	v_dual_add_f32 v141, v100, v31 :: v_dual_sub_f32 v146, v23, v24
	v_sub_f32_e32 v100, v102, v100
	v_sub_f32_e32 v151, v30, v72
	v_add_f32_e32 v215, v44, v45
	v_fma_f32 v12, -0.5, v47, v12
	v_add_f32_e32 v45, v51, v59
	v_fma_f32 v35, -0.5, v53, v13
	;; [unrolled: 2-line block ×3, first 2 shown]
	v_dual_add_f32 v47, v64, v36 :: v_dual_add_f32 v58, v143, v29
	v_fma_f32 v36, -0.5, v66, v14
	v_dual_add_f32 v75, v75, v76 :: v_dual_add_f32 v76, v78, v79
	v_add_f32_e32 v49, v84, v85
	v_fma_f32 v37, -0.5, v86, v15
	v_fmac_f32_e32 v15, -0.5, v98
	v_add_f32_e32 v51, v116, v95
	v_fma_f32 v39, -0.5, v117, v9
	v_fma_f32 v9, -0.5, v122, v9
	v_add_f32_e32 v53, v124, v42
	v_dual_add_f32 v55, v135, v102 :: v_dual_add_f32 v102, v50, v48
	v_fma_f32 v62, -0.5, v144, v60
	v_fma_f32 v60, -0.5, v149, v60
	v_fmamk_f32 v42, v68, 0x3f737871, v34
	v_dual_fmac_f32 v34, 0xbf737871, v68 :: v_dual_add_f32 v207, v61, v22
	v_add_f32_e32 v84, v120, v121
	v_fma_f32 v14, -0.5, v77, v14
	v_dual_add_f32 v77, v94, v96 :: v_dual_fmamk_f32 v44, v69, 0xbf737871, v12
	v_fma_f32 v38, -0.5, v103, v8
	v_dual_add_f32 v79, v107, v112 :: v_dual_fmac_f32 v12, 0x3f737871, v69
	v_fma_f32 v8, -0.5, v113, v8
	v_fma_f32 v40, -0.5, v125, v10
	;; [unrolled: 1-line block ×4, first 2 shown]
	v_dual_add_f32 v95, v100, v142 :: v_dual_fmamk_f32 v48, v105, 0x3f737871, v38
	v_add_f32_e32 v96, v147, v148
	v_dual_add_f32 v59, v43, v80 :: v_dual_fmamk_f32 v50, v106, 0xbf737871, v8
	v_fmamk_f32 v43, v70, 0xbf737871, v35
	v_fmac_f32_e32 v35, 0x3f737871, v70
	v_dual_add_f32 v100, v47, v46 :: v_dual_add_f32 v101, v49, v33
	v_fmamk_f32 v33, v87, 0xbf737871, v37
	v_dual_fmac_f32 v37, 0x3f737871, v87 :: v_dual_add_f32 v104, v55, v104
	v_dual_fmamk_f32 v47, v91, 0x3f737871, v15 :: v_dual_fmamk_f32 v64, v145, 0x3f737871, v62
	v_dual_fmac_f32 v15, 0xbf737871, v91 :: v_dual_fmamk_f32 v66, v146, 0xbf737871, v60
	v_dual_add_f32 v97, v51, v97 :: v_dual_fmac_f32 v60, 0x3f737871, v146
	v_fmamk_f32 v51, v119, 0x3f737871, v9
	v_dual_add_f32 v107, v58, v30 :: v_dual_fmac_f32 v34, 0xbf167918, v69
	v_fmac_f32_e32 v9, 0xbf737871, v119
	v_dual_fmac_f32 v11, -0.5, v141 :: v_dual_add_f32 v78, v83, v99
	v_dual_add_f32 v83, v114, v115 :: v_dual_add_f32 v80, v45, v32
	v_add_f32_e32 v85, v93, v123
	v_dual_add_f32 v93, v133, v134 :: v_dual_fmamk_f32 v46, v74, 0xbf737871, v14
	v_add_f32_e32 v98, v150, v151
	v_dual_add_f32 v99, v207, v23 :: v_dual_fmac_f32 v38, 0xbf737871, v105
	v_dual_fmamk_f32 v45, v71, 0x3f737871, v13 :: v_dual_fmac_f32 v8, 0x3f737871, v106
	v_dual_fmac_f32 v13, 0xbf737871, v71 :: v_dual_fmamk_f32 v54, v127, 0xbf737871, v10
	v_fmamk_f32 v32, v73, 0x3f737871, v36
	v_dual_fmac_f32 v14, 0x3f737871, v74 :: v_dual_add_f32 v103, v53, v52
	v_fmac_f32_e32 v42, 0x3f167918, v69
	v_fmamk_f32 v52, v126, 0x3f737871, v40
	v_dual_fmac_f32 v40, 0xbf737871, v126 :: v_dual_fmamk_f32 v53, v137, 0xbf737871, v41
	v_dual_fmac_f32 v12, 0xbf167918, v68 :: v_dual_fmac_f32 v43, 0xbf167918, v71
	v_dual_fmac_f32 v35, 0x3f167918, v71 :: v_dual_fmac_f32 v32, 0x3f167918, v74
	s_delay_alu instid0(VALU_DEP_4)
	v_dual_add_f32 v69, v97, v28 :: v_dual_fmac_f32 v52, 0x3f167918, v127
	v_dual_add_f32 v71, v104, v31 :: v_dual_fmac_f32 v64, 0x3f167918, v146
	;; [unrolled: 1-line block ×3, first 2 shown]
	v_fmac_f32_e32 v66, 0x3f167918, v145
	v_fmamk_f32 v55, v138, 0x3f737871, v11
	v_fmac_f32_e32 v62, 0xbf737871, v145
	v_fmac_f32_e32 v36, 0xbf737871, v73
	v_dual_fmac_f32 v41, 0x3f737871, v137 :: v_dual_sub_f32 v30, v29, v30
	v_dual_fmac_f32 v11, 0xbf737871, v138 :: v_dual_sub_f32 v72, v22, v23
	v_dual_fmac_f32 v45, 0xbf167918, v70 :: v_dual_fmac_f32 v14, 0xbf167918, v73
	v_dual_fmac_f32 v13, 0x3f167918, v70 :: v_dual_fmac_f32 v46, 0x3f167918, v73
	v_dual_add_f32 v70, v103, v67 :: v_dual_fmac_f32 v53, 0xbf167918, v138
	v_fmac_f32_e32 v60, 0xbf167918, v145
	v_dual_fmac_f32 v64, 0x3e9e377a, v96 :: v_dual_add_f32 v67, v22, v25
	v_dual_fmac_f32 v66, 0x3e9e377a, v98 :: v_dual_add_f32 v31, v99, v24
	s_delay_alu instid0(VALU_DEP_3) | instskip(SKIP_3) | instid1(VALU_DEP_3)
	v_dual_sub_f32 v73, v25, v24 :: v_dual_fmac_f32 v60, 0x3e9e377a, v98
	v_dual_sub_f32 v22, v23, v22 :: v_dual_sub_f32 v23, v24, v25
	v_lshrrev_b32_e32 v24, 3, v211
	v_dual_fmac_f32 v55, 0xbf167918, v137 :: v_dual_fmac_f32 v62, 0xbf167918, v146
	v_dual_fmac_f32 v41, 0x3f167918, v138 :: v_dual_add_f32 v22, v22, v23
	s_delay_alu instid0(VALU_DEP_3) | instskip(SKIP_1) | instid1(VALU_DEP_4)
	v_mul_u32_u24_e32 v23, 40, v24
	v_fma_f32 v63, -0.5, v208, v61
	v_dual_fmac_f32 v62, 0x3e9e377a, v96 :: v_dual_fmac_f32 v61, -0.5, v67
	v_fmac_f32_e32 v44, 0x3f167918, v68
	s_delay_alu instid0(VALU_DEP_4) | instskip(SKIP_1) | instid1(VALU_DEP_4)
	v_or_b32_e32 v23, v23, v17
	v_dual_fmamk_f32 v49, v118, 0xbf737871, v39 :: v_dual_add_f32 v58, v59, v81
	v_fmamk_f32 v67, v30, 0x3f737871, v61
	v_fmac_f32_e32 v61, 0xbf737871, v30
	v_dual_add_f32 v59, v80, v26 :: v_dual_fmac_f32 v44, 0x3e9e377a, v216
	v_dual_fmac_f32 v45, 0x3e9e377a, v218 :: v_dual_fmac_f32 v12, 0x3e9e377a, v216
	v_fmac_f32_e32 v13, 0x3e9e377a, v218
	v_lshlrev_b32_e32 v245, 3, v23
	v_fmac_f32_e32 v67, 0xbf167918, v212
	v_fmac_f32_e32 v61, 0x3f167918, v212
	v_lshrrev_b32_e32 v24, 3, v90
	global_wb scope:SCOPE_SE
	s_barrier_signal -1
	s_barrier_wait -1
	global_inv scope:SCOPE_SE
	ds_store_2addr_b64 v245, v[44:45], v[12:13] offset0:16 offset1:24
	v_lshrrev_b32_e32 v12, 3, v92
	v_fmac_f32_e32 v67, 0x3e9e377a, v22
	v_fmac_f32_e32 v61, 0x3e9e377a, v22
	v_mul_u32_u24_e32 v22, 40, v24
	v_lshrrev_b32_e32 v23, 3, v89
	v_lshrrev_b32_e32 v24, 3, v88
	v_mul_u32_u24_e32 v12, 40, v12
	v_dual_fmac_f32 v39, 0x3f737871, v118 :: v_dual_add_f32 v68, v102, v65
	v_or_b32_e32 v22, v22, v17
	v_mul_u32_u24_e32 v23, 40, v23
	v_mul_u32_u24_e32 v13, 40, v24
	v_fmac_f32_e32 v10, 0x3f737871, v127
	v_or_b32_e32 v12, v12, v17
	v_fmamk_f32 v65, v212, 0xbf737871, v63
	v_dual_fmac_f32 v36, 0xbf167918, v74 :: v_dual_add_f32 v27, v101, v27
	v_dual_fmac_f32 v33, 0xbf167918, v91 :: v_dual_fmac_f32 v38, 0xbf167918, v106
	v_dual_fmac_f32 v37, 0x3f167918, v91 :: v_dual_fmac_f32 v48, 0x3f167918, v106
	;; [unrolled: 1-line block ×6, first 2 shown]
	v_fmac_f32_e32 v63, 0x3f737871, v212
	v_lshlrev_b32_e32 v249, 3, v22
	v_or_b32_e32 v22, v23, v17
	v_add_f32_e32 v86, v130, v131
	v_add_f32_e32 v94, v139, v140
	;; [unrolled: 1-line block ×3, first 2 shown]
	v_dual_fmac_f32 v51, 0xbf167918, v118 :: v_dual_fmac_f32 v40, 0xbf167918, v127
	v_or_b32_e32 v13, v13, v17
	v_dual_fmac_f32 v11, 0x3f167918, v137 :: v_dual_lshlrev_b32 v248, 3, v22
	v_add_f32_e32 v29, v31, v25
	v_dual_add_f32 v31, v72, v73 :: v_dual_lshlrev_b32 v246, 3, v12
	v_fmac_f32_e32 v65, 0xbf167918, v30
	v_dual_fmac_f32 v42, 0x3e9e377a, v215 :: v_dual_fmac_f32 v43, 0x3e9e377a, v217
	v_dual_fmac_f32 v34, 0x3e9e377a, v215 :: v_dual_fmac_f32 v35, 0x3e9e377a, v217
	;; [unrolled: 1-line block ×8, first 2 shown]
	v_fmac_f32_e32 v63, 0x3f167918, v30
	v_dual_fmac_f32 v50, 0x3e9e377a, v83 :: v_dual_fmac_f32 v51, 0x3e9e377a, v85
	v_dual_fmac_f32 v8, 0x3e9e377a, v83 :: v_dual_fmac_f32 v9, 0x3e9e377a, v85
	v_dual_fmac_f32 v52, 0x3e9e377a, v86 :: v_dual_fmac_f32 v55, 0x3e9e377a, v95
	v_dual_fmac_f32 v54, 0x3e9e377a, v93 :: v_dual_fmac_f32 v53, 0x3e9e377a, v94
	v_dual_fmac_f32 v40, 0x3e9e377a, v86 :: v_dual_lshlrev_b32 v247, 3, v13
	v_dual_fmac_f32 v11, 0x3e9e377a, v95 :: v_dual_fmac_f32 v10, 0x3e9e377a, v93
	v_fmac_f32_e32 v41, 0x3e9e377a, v94
	v_fmac_f32_e32 v65, 0x3e9e377a, v31
	;; [unrolled: 1-line block ×3, first 2 shown]
	ds_store_2addr_b64 v245, v[58:59], v[42:43] offset1:8
	ds_store_b64 v245, v[34:35] offset:256
	ds_store_2addr_b64 v249, v[26:27], v[32:33] offset1:8
	ds_store_2addr_b64 v249, v[46:47], v[14:15] offset0:16 offset1:24
	ds_store_b64 v249, v[36:37] offset:256
	ds_store_2addr_b64 v248, v[68:69], v[48:49] offset1:8
	ds_store_2addr_b64 v248, v[50:51], v[8:9] offset0:16 offset1:24
	;; [unrolled: 3-line block ×4, first 2 shown]
	ds_store_b64 v246, v[62:63] offset:256
	global_wb scope:SCOPE_SE
	s_wait_dscnt 0x0
	s_barrier_signal -1
	s_barrier_wait -1
	global_inv scope:SCOPE_SE
	ds_load_2addr_b64 v[72:75], v209 offset1:56
	ds_load_2addr_b64 v[68:71], v209 offset0:112 offset1:200
	ds_load_2addr_b64 v[24:27], v21 offset0:144 offset1:200
	ds_load_2addr_b64 v[52:55], v19 offset1:88
	ds_load_2addr_b64 v[36:39], v16 offset0:32 offset1:88
	ds_load_2addr_b64 v[14:17], v16 offset0:144 offset1:232
	;; [unrolled: 1-line block ×3, first 2 shown]
	ds_load_2addr_b64 v[80:83], v21 offset1:56
	ds_load_2addr_b64 v[76:79], v19 offset0:144 offset1:200
	ds_load_2addr_b64 v[10:13], v20 offset0:32 offset1:88
	ds_load_b64 v[84:85], v209 offset:10496
                                        ; implicit-def: $vgpr86
	s_and_saveexec_b32 s1, s0
	s_cbranch_execz .LBB0_17
; %bb.16:
	v_add_nc_u32_e32 v8, 0x1100, v209
	v_add_nc_u32_e32 v9, 0x1e00, v209
	ds_load_2addr_b64 v[64:67], v18 offset0:40 offset1:240
	ds_load_2addr_b64 v[60:63], v8 offset0:24 offset1:224
	;; [unrolled: 1-line block ×3, first 2 shown]
	ds_load_b64 v[86:87], v209 offset:10944
.LBB0_17:
	s_wait_alu 0xfffe
	s_or_b32 exec_lo, exec_lo, s1
	v_subrev_nc_u32_e32 v8, 40, v211
	v_cmp_gt_u16_e64 s1, 40, v211
	s_wait_alu 0xf1ff
	s_delay_alu instid0(VALU_DEP_1) | instskip(NEXT) | instid1(VALU_DEP_1)
	v_cndmask_b32_e64 v93, v8, v211, s1
	v_mul_i32_i24_e32 v8, 48, v93
	v_mul_hi_i32_i24_e32 v9, 48, v93
	s_delay_alu instid0(VALU_DEP_2) | instskip(SKIP_1) | instid1(VALU_DEP_2)
	v_add_co_u32 v8, s1, s2, v8
	s_wait_alu 0xf1ff
	v_add_co_ci_u32_e64 v9, s1, s3, v9, s1
	v_cmp_lt_u16_e64 s1, 39, v211
	s_clause 0x1
	global_load_b128 v[20:23], v[8:9], off offset:304
	global_load_b128 v[44:47], v[8:9], off offset:320
	s_wait_loadcnt_dscnt 0x108
	v_dual_mul_f32 v117, v24, v23 :: v_dual_and_b32 v18, 0xff, v90
	s_delay_alu instid0(VALU_DEP_1) | instskip(SKIP_2) | instid1(VALU_DEP_2)
	v_mul_lo_u16 v18, 0xcd, v18
	s_wait_loadcnt_dscnt 0x6
	v_mul_f32_e32 v121, v36, v47
	v_lshrrev_b16 v91, 13, v18
	s_delay_alu instid0(VALU_DEP_2) | instskip(NEXT) | instid1(VALU_DEP_2)
	v_fmac_f32_e32 v121, v37, v46
	v_mul_lo_u16 v18, v91, 40
	s_delay_alu instid0(VALU_DEP_1) | instskip(NEXT) | instid1(VALU_DEP_1)
	v_sub_nc_u16 v18, v90, v18
	v_and_b32_e32 v94, 0xff, v18
	v_mul_f32_e32 v18, v25, v23
	s_delay_alu instid0(VALU_DEP_1) | instskip(NEXT) | instid1(VALU_DEP_3)
	v_fma_f32 v116, v24, v22, -v18
	v_mad_co_u64_u32 v[18:19], null, v94, 48, s[2:3]
	s_clause 0x1
	global_load_b128 v[48:51], v[8:9], off offset:336
	global_load_b128 v[40:43], v[18:19], off offset:304
	v_fmac_f32_e32 v117, v25, v22
	s_wait_loadcnt_dscnt 0x104
	v_mul_f32_e32 v123, v32, v51
	s_wait_loadcnt 0x0
	v_mul_f32_e32 v8, v27, v43
	v_dual_mul_f32 v100, v26, v43 :: v_dual_mul_f32 v127, v16, v49
	s_wait_dscnt 0x3
	v_mul_f32_e32 v113, v80, v41
	v_fmac_f32_e32 v123, v33, v50
	v_fma_f32 v99, v26, v42, -v8
	v_fmac_f32_e32 v100, v27, v42
	s_clause 0x1
	global_load_b128 v[28:31], v[18:19], off offset:320
	global_load_b128 v[24:27], v[18:19], off offset:336
	v_fmac_f32_e32 v113, v81, v40
	v_fmac_f32_e32 v127, v17, v48
	s_wait_loadcnt 0x1
	v_mul_f32_e32 v103, v38, v31
	s_wait_loadcnt 0x0
	v_mul_f32_e32 v105, v34, v27
	s_wait_dscnt 0x1
	v_dual_mul_f32 v8, v37, v47 :: v_dual_mul_f32 v119, v10, v25
	v_fmac_f32_e32 v103, v39, v30
	s_delay_alu instid0(VALU_DEP_3) | instskip(NEXT) | instid1(VALU_DEP_3)
	v_fmac_f32_e32 v105, v35, v26
	v_fma_f32 v120, v36, v46, -v8
	v_mul_f32_e32 v8, v39, v31
	v_fmac_f32_e32 v119, v11, v24
	s_delay_alu instid0(VALU_DEP_4) | instskip(NEXT) | instid1(VALU_DEP_3)
	v_add_f32_e32 v141, v113, v105
	v_fma_f32 v102, v38, v30, -v8
	v_mul_f32_e32 v8, v33, v51
	s_delay_alu instid0(VALU_DEP_1) | instskip(SKIP_1) | instid1(VALU_DEP_1)
	v_fma_f32 v122, v32, v50, -v8
	v_mul_f32_e32 v8, v35, v27
	v_fma_f32 v104, v34, v26, -v8
	v_and_b32_e32 v8, 0xff, v89
	s_delay_alu instid0(VALU_DEP_1) | instskip(NEXT) | instid1(VALU_DEP_1)
	v_mul_lo_u16 v8, 0xcd, v8
	v_lshrrev_b16 v95, 13, v8
	s_delay_alu instid0(VALU_DEP_1) | instskip(NEXT) | instid1(VALU_DEP_1)
	v_mul_lo_u16 v8, v95, 40
	v_sub_nc_u16 v8, v89, v8
	s_delay_alu instid0(VALU_DEP_1) | instskip(SKIP_1) | instid1(VALU_DEP_1)
	v_and_b32_e32 v96, 0xff, v8
	v_mul_f32_e32 v8, v81, v41
	v_fma_f32 v112, v80, v40, -v8
	s_delay_alu instid0(VALU_DEP_3)
	v_mad_co_u64_u32 v[8:9], null, v96, 48, s[2:3]
	s_clause 0x1
	global_load_b128 v[32:35], v[8:9], off offset:304
	global_load_b128 v[36:39], v[8:9], off offset:320
	v_mul_f32_e32 v115, v76, v29
	s_wait_loadcnt 0x1
	v_mul_f32_e32 v18, v83, v33
	v_mul_f32_e32 v81, v82, v33
	s_wait_loadcnt 0x0
	v_mul_f32_e32 v101, v14, v39
	s_delay_alu instid0(VALU_DEP_2) | instskip(NEXT) | instid1(VALU_DEP_2)
	v_dual_mul_f32 v98, v78, v37 :: v_dual_fmac_f32 v81, v83, v32
	v_fmac_f32_e32 v101, v15, v38
	v_mul_f32_e32 v83, v52, v35
	v_fma_f32 v80, v82, v32, -v18
	v_mul_f32_e32 v18, v55, v45
	v_dual_mul_f32 v125, v54, v45 :: v_dual_fmac_f32 v98, v79, v36
	s_delay_alu instid0(VALU_DEP_4) | instskip(NEXT) | instid1(VALU_DEP_3)
	v_dual_fmac_f32 v83, v53, v34 :: v_dual_add_f32 v142, v100, v119
	v_fma_f32 v124, v54, v44, -v18
	s_delay_alu instid0(VALU_DEP_3) | instskip(NEXT) | instid1(VALU_DEP_4)
	v_dual_mul_f32 v18, v53, v35 :: v_dual_fmac_f32 v125, v55, v44
	v_add_f32_e32 v151, v98, v101
	s_delay_alu instid0(VALU_DEP_2)
	v_fma_f32 v82, v52, v34, -v18
	v_mul_f32_e32 v18, v77, v29
	global_load_b128 v[52:55], v[8:9], off offset:336
	v_dual_add_f32 v138, v124, v120 :: v_dual_add_f32 v139, v125, v121
	v_add_f32_e32 v132, v117, v127
	v_fma_f32 v114, v76, v28, -v18
	s_delay_alu instid0(VALU_DEP_1) | instskip(NEXT) | instid1(VALU_DEP_1)
	v_dual_mul_f32 v18, v79, v37 :: v_dual_add_f32 v133, v114, v102
	v_fma_f32 v97, v78, v36, -v18
	v_mul_f32_e32 v18, v17, v49
	s_delay_alu instid0(VALU_DEP_1) | instskip(SKIP_1) | instid1(VALU_DEP_2)
	v_fma_f32 v126, v16, v48, -v18
	v_dual_mul_f32 v16, v15, v39 :: v_dual_mul_f32 v137, v70, v21
	v_add_f32_e32 v130, v116, v126
	s_delay_alu instid0(VALU_DEP_2) | instskip(SKIP_1) | instid1(VALU_DEP_4)
	v_fma_f32 v79, v14, v38, -v16
	v_and_b32_e32 v14, 0xff, v88
	v_fmac_f32_e32 v137, v71, v20
	s_delay_alu instid0(VALU_DEP_3) | instskip(NEXT) | instid1(VALU_DEP_3)
	v_add_f32_e32 v147, v97, v79
	v_mul_lo_u16 v14, 0xcd, v14
	s_delay_alu instid0(VALU_DEP_3) | instskip(NEXT) | instid1(VALU_DEP_2)
	v_add_f32_e32 v131, v137, v123
	v_lshrrev_b16 v14, 13, v14
	s_delay_alu instid0(VALU_DEP_1) | instskip(NEXT) | instid1(VALU_DEP_1)
	v_mul_lo_u16 v14, v14, 40
	v_sub_nc_u16 v14, v88, v14
	s_delay_alu instid0(VALU_DEP_1) | instskip(SKIP_1) | instid1(VALU_DEP_2)
	v_dual_fmac_f32 v115, v77, v28 :: v_dual_and_b32 v232, 0xff, v14
	v_mul_f32_e32 v14, v11, v25
	v_add_f32_e32 v143, v115, v103
	s_delay_alu instid0(VALU_DEP_3) | instskip(NEXT) | instid1(VALU_DEP_3)
	v_mad_co_u64_u32 v[16:17], null, v232, 48, s[2:3]
	v_fma_f32 v118, v10, v24, -v14
	global_load_b128 v[8:11], v[16:17], off offset:304
	s_wait_loadcnt 0x1
	v_mul_f32_e32 v14, v13, v53
	v_mul_f32_e32 v107, v12, v53
	s_delay_alu instid0(VALU_DEP_2) | instskip(SKIP_3) | instid1(VALU_DEP_2)
	v_fma_f32 v106, v12, v52, -v14
	s_wait_loadcnt 0x0
	v_mul_f32_e32 v12, v61, v11
	v_mul_f32_e32 v212, v66, v9
	v_fma_f32 v76, v60, v10, -v12
	v_mul_f32_e32 v60, v60, v11
	s_delay_alu instid0(VALU_DEP_3) | instskip(NEXT) | instid1(VALU_DEP_2)
	v_fmac_f32_e32 v212, v67, v8
	v_fmac_f32_e32 v60, v61, v10
	;; [unrolled: 1-line block ×3, first 2 shown]
	s_clause 0x1
	global_load_b128 v[12:15], v[16:17], off offset:320
	global_load_b128 v[16:19], v[16:17], off offset:336
	global_wb scope:SCOPE_SE
	s_wait_loadcnt_dscnt 0x0
	s_barrier_signal -1
	s_barrier_wait -1
	global_inv scope:SCOPE_SE
	v_mul_f32_e32 v61, v63, v13
	v_mul_f32_e32 v77, v56, v15
	s_delay_alu instid0(VALU_DEP_2) | instskip(NEXT) | instid1(VALU_DEP_2)
	v_fma_f32 v61, v62, v12, -v61
	v_dual_mul_f32 v62, v62, v13 :: v_dual_fmac_f32 v77, v57, v14
	v_add_f32_e32 v150, v83, v107
	s_delay_alu instid0(VALU_DEP_2) | instskip(NEXT) | instid1(VALU_DEP_1)
	v_dual_fmac_f32 v62, v63, v12 :: v_dual_mul_f32 v63, v57, v15
	v_fma_f32 v63, v56, v14, -v63
	v_mul_f32_e32 v56, v59, v17
	v_add_f32_e32 v146, v82, v106
	s_delay_alu instid0(VALU_DEP_4) | instskip(NEXT) | instid1(VALU_DEP_4)
	v_add_f32_e32 v221, v62, v77
	v_add_f32_e32 v217, v61, v63
	s_delay_alu instid0(VALU_DEP_4) | instskip(SKIP_2) | instid1(VALU_DEP_1)
	v_fma_f32 v78, v58, v16, -v56
	v_mul_f32_e32 v58, v58, v17
	v_mul_f32_e32 v56, v71, v21
	v_fma_f32 v136, v70, v20, -v56
	s_delay_alu instid0(VALU_DEP_3) | instskip(SKIP_1) | instid1(VALU_DEP_3)
	v_fmac_f32_e32 v58, v59, v16
	v_add_f32_e32 v59, v112, v104
	v_add_f32_e32 v71, v136, v122
	s_delay_alu instid0(VALU_DEP_1) | instskip(NEXT) | instid1(VALU_DEP_1)
	v_add_f32_e32 v56, v130, v71
	v_add_f32_e32 v134, v138, v56
	;; [unrolled: 1-line block ×3, first 2 shown]
	s_delay_alu instid0(VALU_DEP_1) | instskip(SKIP_1) | instid1(VALU_DEP_2)
	v_dual_add_f32 v72, v72, v134 :: v_dual_add_f32 v135, v139, v56
	v_add_f32_e32 v70, v99, v118
	v_dual_fmamk_f32 v134, v134, 0xbf955555, v72 :: v_dual_add_f32 v73, v73, v135
	s_delay_alu instid0(VALU_DEP_2) | instskip(NEXT) | instid1(VALU_DEP_2)
	v_add_f32_e32 v56, v70, v59
	v_dual_add_f32 v220, v60, v58 :: v_dual_fmamk_f32 v135, v135, 0xbf955555, v73
	s_delay_alu instid0(VALU_DEP_2) | instskip(SKIP_1) | instid1(VALU_DEP_1)
	v_add_f32_e32 v140, v133, v56
	v_add_f32_e32 v56, v142, v141
	;; [unrolled: 1-line block ×3, first 2 shown]
	v_mul_f32_e32 v56, v85, v55
	s_delay_alu instid0(VALU_DEP_1) | instskip(SKIP_1) | instid1(VALU_DEP_1)
	v_fma_f32 v145, v84, v54, -v56
	v_mul_f32_e32 v84, v84, v55
	v_dual_fmac_f32 v84, v85, v54 :: v_dual_add_f32 v85, v80, v145
	v_add_f32_e32 v75, v75, v144
	s_delay_alu instid0(VALU_DEP_2) | instskip(NEXT) | instid1(VALU_DEP_1)
	v_dual_add_f32 v149, v81, v84 :: v_dual_add_f32 v56, v146, v85
	v_add_f32_e32 v148, v147, v56
	s_delay_alu instid0(VALU_DEP_2) | instskip(NEXT) | instid1(VALU_DEP_1)
	v_add_f32_e32 v56, v150, v149
	v_add_f32_e32 v207, v151, v56
	v_mul_f32_e32 v56, v87, v19
	s_delay_alu instid0(VALU_DEP_2) | instskip(NEXT) | instid1(VALU_DEP_2)
	v_dual_add_f32 v74, v74, v140 :: v_dual_add_f32 v69, v69, v207
	v_fma_f32 v208, v86, v18, -v56
	v_mul_f32_e32 v86, v86, v19
	v_dual_mul_f32 v56, v67, v9 :: v_dual_sub_f32 v67, v137, v123
	v_add_f32_e32 v216, v76, v78
	s_delay_alu instid0(VALU_DEP_3) | instskip(NEXT) | instid1(VALU_DEP_3)
	v_fmac_f32_e32 v86, v87, v18
	v_fma_f32 v87, v66, v8, -v56
	v_sub_f32_e32 v66, v136, v122
	s_delay_alu instid0(VALU_DEP_3) | instskip(NEXT) | instid1(VALU_DEP_3)
	v_dual_sub_f32 v122, v139, v132 :: v_dual_add_f32 v219, v212, v86
	v_add_f32_e32 v215, v87, v208
	s_delay_alu instid0(VALU_DEP_1) | instskip(NEXT) | instid1(VALU_DEP_1)
	v_add_f32_e32 v56, v216, v215
	v_add_f32_e32 v218, v217, v56
	s_delay_alu instid0(VALU_DEP_4) | instskip(NEXT) | instid1(VALU_DEP_1)
	v_add_f32_e32 v56, v220, v219
	v_add_f32_e32 v222, v221, v56
	s_delay_alu instid0(VALU_DEP_1) | instskip(SKIP_2) | instid1(VALU_DEP_1)
	v_add_f32_e32 v57, v65, v222
	v_sub_f32_e32 v65, v121, v125
	v_dual_sub_f32 v121, v131, v139 :: v_dual_add_f32 v68, v68, v148
	v_dual_mul_f32 v121, 0x3f4a47b2, v121 :: v_dual_add_f32 v56, v64, v218
	s_wait_alu 0xf1ff
	v_cndmask_b32_e64 v64, 0, 0x118, s1
	s_delay_alu instid0(VALU_DEP_1) | instskip(SKIP_4) | instid1(VALU_DEP_4)
	v_add_lshl_u32 v250, v93, v64, 3
	v_sub_f32_e32 v64, v120, v124
	v_dual_sub_f32 v93, v116, v126 :: v_dual_sub_f32 v116, v117, v127
	v_sub_f32_e32 v117, v71, v138
	v_sub_f32_e32 v120, v138, v130
	;; [unrolled: 1-line block ×3, first 2 shown]
	s_delay_alu instid0(VALU_DEP_4) | instskip(SKIP_3) | instid1(VALU_DEP_3)
	v_add_f32_e32 v123, v64, v93
	v_sub_f32_e32 v124, v64, v93
	v_dual_add_f32 v64, v65, v116 :: v_dual_mul_f32 v117, 0x3f4a47b2, v117
	v_sub_f32_e32 v127, v67, v65
	v_dual_add_f32 v123, v123, v66 :: v_dual_mul_f32 v124, 0xbf08b237, v124
	s_delay_alu instid0(VALU_DEP_3) | instskip(NEXT) | instid1(VALU_DEP_4)
	v_add_f32_e32 v136, v64, v67
	v_fmamk_f32 v64, v120, 0x3d64c772, v117
	v_sub_f32_e32 v66, v93, v66
	s_delay_alu instid0(VALU_DEP_4) | instskip(NEXT) | instid1(VALU_DEP_3)
	v_fmamk_f32 v137, v125, 0x3eae86e6, v124
	v_dual_add_f32 v139, v64, v134 :: v_dual_sub_f32 v126, v65, v116
	v_fmamk_f32 v64, v122, 0x3d64c772, v121
	s_delay_alu instid0(VALU_DEP_3) | instskip(NEXT) | instid1(VALU_DEP_3)
	v_fmac_f32_e32 v137, 0x3ee1c552, v123
	v_dual_sub_f32 v67, v116, v67 :: v_dual_mul_f32 v126, 0xbf08b237, v126
	s_delay_alu instid0(VALU_DEP_1) | instskip(NEXT) | instid1(VALU_DEP_1)
	v_dual_add_f32 v223, v64, v135 :: v_dual_fmamk_f32 v138, v127, 0x3eae86e6, v126
	v_dual_sub_f32 v65, v223, v137 :: v_dual_fmac_f32 v138, 0x3ee1c552, v136
	s_delay_alu instid0(VALU_DEP_1) | instskip(SKIP_4) | instid1(VALU_DEP_3)
	v_add_f32_e32 v64, v138, v139
	ds_store_2addr_b64 v250, v[72:73], v[64:65] offset1:40
	v_fma_f32 v72, 0x3f5ff5aa, v66, -v124
	v_dual_mul_f32 v66, 0x3f5ff5aa, v66 :: v_dual_sub_f32 v65, v132, v131
	v_dual_sub_f32 v64, v130, v71 :: v_dual_mul_f32 v71, 0x3d64c772, v120
	v_fmac_f32_e32 v72, 0x3ee1c552, v123
	s_delay_alu instid0(VALU_DEP_3) | instskip(SKIP_1) | instid1(VALU_DEP_4)
	v_fma_f32 v73, 0xbeae86e6, v125, -v66
	v_mul_f32_e32 v66, 0x3f5ff5aa, v67
	v_fma_f32 v71, 0x3f3bfb3b, v64, -v71
	v_fma_f32 v64, 0xbf3bfb3b, v64, -v117
	s_delay_alu instid0(VALU_DEP_4) | instskip(NEXT) | instid1(VALU_DEP_4)
	v_fmac_f32_e32 v73, 0x3ee1c552, v123
	v_fma_f32 v116, 0xbeae86e6, v127, -v66
	v_mul_f32_e32 v66, 0x3d64c772, v122
	s_delay_alu instid0(VALU_DEP_2) | instskip(NEXT) | instid1(VALU_DEP_2)
	v_fmac_f32_e32 v116, 0x3ee1c552, v136
	v_fma_f32 v66, 0x3f3bfb3b, v65, -v66
	v_fma_f32 v65, 0xbf3bfb3b, v65, -v121
	s_delay_alu instid0(VALU_DEP_2) | instskip(NEXT) | instid1(VALU_DEP_2)
	v_add_f32_e32 v121, v66, v135
	v_add_f32_e32 v120, v65, v135
	s_delay_alu instid0(VALU_DEP_1) | instskip(SKIP_1) | instid1(VALU_DEP_4)
	v_sub_f32_e32 v65, v120, v73
	v_fma_f32 v93, 0x3f5ff5aa, v67, -v126
	v_add_f32_e32 v67, v72, v121
	v_add_f32_e32 v71, v71, v134
	v_add_f32_e32 v117, v64, v134
	s_delay_alu instid0(VALU_DEP_1) | instskip(NEXT) | instid1(VALU_DEP_1)
	v_dual_fmac_f32 v93, 0x3ee1c552, v136 :: v_dual_add_f32 v64, v116, v117
	v_sub_f32_e32 v66, v71, v93
	ds_store_2addr_b64 v250, v[64:65], v[66:67] offset0:80 offset1:120
	v_add_f32_e32 v64, v93, v71
	v_sub_f32_e32 v65, v121, v72
	v_sub_f32_e32 v66, v117, v116
	v_add_f32_e32 v67, v73, v120
	v_sub_f32_e32 v93, v141, v143
	v_sub_f32_e32 v71, v99, v118
	;; [unrolled: 1-line block ×4, first 2 shown]
	s_delay_alu instid0(VALU_DEP_4)
	v_mul_f32_e32 v93, 0x3f4a47b2, v93
	ds_store_2addr_b64 v250, v[64:65], v[66:67] offset0:160 offset1:200
	v_dual_add_f32 v65, v137, v223 :: v_dual_sub_f32 v64, v139, v138
	v_sub_f32_e32 v66, v112, v104
	v_dual_sub_f32 v72, v100, v119 :: v_dual_sub_f32 v67, v113, v105
	v_mul_f32_e32 v73, 0x3f4a47b2, v73
	ds_store_b64 v250, v[64:65] offset:1920
	v_and_b32_e32 v64, 0xffff, v91
	v_sub_f32_e32 v65, v103, v115
	v_sub_f32_e32 v91, v133, v70
	v_fmamk_f32 v113, v144, 0xbf955555, v75
	v_fmamk_f32 v112, v140, 0xbf955555, v74
	v_mul_u32_u24_e32 v64, 0x118, v64
	v_sub_f32_e32 v103, v65, v72
	s_delay_alu instid0(VALU_DEP_2) | instskip(SKIP_1) | instid1(VALU_DEP_3)
	v_add_lshl_u32 v251, v64, v94, 3
	v_sub_f32_e32 v64, v102, v114
	v_dual_sub_f32 v94, v143, v142 :: v_dual_mul_f32 v103, 0xbf08b237, v103
	s_delay_alu instid0(VALU_DEP_2) | instskip(SKIP_2) | instid1(VALU_DEP_3)
	v_add_f32_e32 v99, v64, v71
	v_sub_f32_e32 v100, v64, v71
	v_sub_f32_e32 v102, v66, v64
	v_dual_add_f32 v64, v65, v72 :: v_dual_add_f32 v99, v99, v66
	v_sub_f32_e32 v104, v67, v65
	s_delay_alu instid0(VALU_DEP_2) | instskip(SKIP_1) | instid1(VALU_DEP_2)
	v_dual_mul_f32 v100, 0xbf08b237, v100 :: v_dual_add_f32 v105, v64, v67
	v_fmamk_f32 v64, v91, 0x3d64c772, v73
	v_dual_fmamk_f32 v115, v104, 0x3eae86e6, v103 :: v_dual_fmamk_f32 v114, v102, 0x3eae86e6, v100
	s_delay_alu instid0(VALU_DEP_2) | instskip(SKIP_1) | instid1(VALU_DEP_3)
	v_add_f32_e32 v116, v64, v112
	v_fmamk_f32 v64, v94, 0x3d64c772, v93
	v_dual_fmac_f32 v115, 0x3ee1c552, v105 :: v_dual_fmac_f32 v114, 0x3ee1c552, v99
	s_delay_alu instid0(VALU_DEP_1) | instskip(NEXT) | instid1(VALU_DEP_1)
	v_dual_add_f32 v117, v64, v113 :: v_dual_add_f32 v64, v115, v116
	v_sub_f32_e32 v65, v117, v114
	ds_store_2addr_b64 v251, v[74:75], v[64:65] offset1:40
	v_dual_sub_f32 v65, v71, v66 :: v_dual_sub_f32 v66, v72, v67
	v_mul_f32_e32 v67, 0x3d64c772, v91
	s_delay_alu instid0(VALU_DEP_2) | instskip(SKIP_1) | instid1(VALU_DEP_3)
	v_fma_f32 v70, 0x3f5ff5aa, v65, -v100
	v_mul_f32_e32 v65, 0x3f5ff5aa, v65
	v_fma_f32 v67, 0x3f3bfb3b, v59, -v67
	v_fma_f32 v59, 0xbf3bfb3b, v59, -v73
	;; [unrolled: 1-line block ×3, first 2 shown]
	v_fmac_f32_e32 v70, 0x3ee1c552, v99
	v_fma_f32 v71, 0xbeae86e6, v102, -v65
	v_mul_f32_e32 v65, 0x3f5ff5aa, v66
	s_delay_alu instid0(VALU_DEP_2) | instskip(SKIP_1) | instid1(VALU_DEP_3)
	v_dual_fmac_f32 v72, 0x3ee1c552, v105 :: v_dual_fmac_f32 v71, 0x3ee1c552, v99
	v_sub_f32_e32 v64, v142, v141
	v_fma_f32 v73, 0xbeae86e6, v104, -v65
	v_mul_f32_e32 v65, 0x3d64c772, v94
	s_delay_alu instid0(VALU_DEP_2) | instskip(NEXT) | instid1(VALU_DEP_2)
	v_fmac_f32_e32 v73, 0x3ee1c552, v105
	v_fma_f32 v65, 0x3f3bfb3b, v64, -v65
	v_fma_f32 v64, 0xbf3bfb3b, v64, -v93
	s_delay_alu instid0(VALU_DEP_2) | instskip(SKIP_1) | instid1(VALU_DEP_3)
	v_dual_add_f32 v91, v65, v113 :: v_dual_add_f32 v74, v67, v112
	v_add_f32_e32 v59, v59, v112
	v_add_f32_e32 v75, v64, v113
	s_delay_alu instid0(VALU_DEP_3) | instskip(NEXT) | instid1(VALU_DEP_4)
	v_add_f32_e32 v67, v70, v91
	v_sub_f32_e32 v66, v74, v72
	s_delay_alu instid0(VALU_DEP_4) | instskip(NEXT) | instid1(VALU_DEP_4)
	v_add_f32_e32 v64, v73, v59
	v_sub_f32_e32 v65, v75, v71
	ds_store_2addr_b64 v251, v[64:65], v[66:67] offset0:80 offset1:120
	v_dual_sub_f32 v66, v59, v73 :: v_dual_and_b32 v59, 0xffff, v95
	v_dual_add_f32 v64, v72, v74 :: v_dual_sub_f32 v73, v149, v151
	v_add_f32_e32 v67, v71, v75
	v_sub_f32_e32 v71, v85, v147
	s_delay_alu instid0(VALU_DEP_4) | instskip(NEXT) | instid1(VALU_DEP_4)
	v_mul_u32_u24_e32 v59, 0x118, v59
	v_mul_f32_e32 v73, 0x3f4a47b2, v73
	s_delay_alu instid0(VALU_DEP_3) | instskip(NEXT) | instid1(VALU_DEP_3)
	v_mul_f32_e32 v71, 0x3f4a47b2, v71
	v_add_lshl_u32 v252, v59, v96, 3
	v_sub_f32_e32 v59, v80, v145
	v_sub_f32_e32 v65, v91, v70
	v_sub_f32_e32 v70, v83, v107
	v_fmamk_f32 v91, v207, 0xbf955555, v69
	ds_store_2addr_b64 v251, v[64:65], v[66:67] offset0:160 offset1:200
	v_dual_sub_f32 v64, v116, v115 :: v_dual_add_f32 v65, v114, v117
	v_sub_f32_e32 v67, v82, v106
	ds_store_b64 v251, v[64:65] offset:1920
	v_sub_f32_e32 v64, v79, v97
	v_sub_f32_e32 v66, v81, v84
	v_dual_sub_f32 v65, v101, v98 :: v_dual_fmamk_f32 v84, v148, 0xbf955555, v68
	s_delay_alu instid0(VALU_DEP_3) | instskip(NEXT) | instid1(VALU_DEP_2)
	v_add_f32_e32 v75, v64, v67
	v_dual_sub_f32 v79, v64, v67 :: v_dual_sub_f32 v82, v66, v65
	v_sub_f32_e32 v72, v147, v146
	s_delay_alu instid0(VALU_DEP_3) | instskip(NEXT) | instid1(VALU_DEP_3)
	v_add_f32_e32 v75, v75, v59
	v_dual_mul_f32 v79, 0xbf08b237, v79 :: v_dual_sub_f32 v80, v59, v64
	v_dual_add_f32 v64, v65, v70 :: v_dual_sub_f32 v59, v67, v59
	s_delay_alu instid0(VALU_DEP_4) | instskip(NEXT) | instid1(VALU_DEP_2)
	v_mul_f32_e32 v67, 0x3d64c772, v72
	v_add_f32_e32 v83, v64, v66
	v_sub_f32_e32 v81, v65, v70
	v_sub_f32_e32 v74, v151, v150
	v_fmamk_f32 v64, v72, 0x3d64c772, v71
	s_delay_alu instid0(VALU_DEP_3) | instskip(NEXT) | instid1(VALU_DEP_2)
	v_mul_f32_e32 v81, 0xbf08b237, v81
	v_dual_add_f32 v95, v64, v84 :: v_dual_fmamk_f32 v64, v74, 0x3d64c772, v73
	s_delay_alu instid0(VALU_DEP_2) | instskip(NEXT) | instid1(VALU_DEP_2)
	v_fmamk_f32 v94, v82, 0x3eae86e6, v81
	v_add_f32_e32 v96, v64, v91
	s_delay_alu instid0(VALU_DEP_2) | instskip(NEXT) | instid1(VALU_DEP_1)
	v_fmac_f32_e32 v94, 0x3ee1c552, v83
	v_dual_fmamk_f32 v93, v80, 0x3eae86e6, v79 :: v_dual_add_f32 v64, v94, v95
	s_delay_alu instid0(VALU_DEP_1) | instskip(NEXT) | instid1(VALU_DEP_1)
	v_fmac_f32_e32 v93, 0x3ee1c552, v75
	v_sub_f32_e32 v65, v96, v93
	ds_store_2addr_b64 v252, v[68:69], v[64:65] offset1:40
	v_sub_f32_e32 v64, v146, v85
	v_fma_f32 v68, 0x3f5ff5aa, v59, -v79
	v_mul_f32_e32 v59, 0x3f5ff5aa, v59
	v_sub_f32_e32 v65, v150, v149
	s_delay_alu instid0(VALU_DEP_4) | instskip(SKIP_1) | instid1(VALU_DEP_4)
	v_fma_f32 v67, 0x3f3bfb3b, v64, -v67
	v_fma_f32 v64, 0xbf3bfb3b, v64, -v71
	;; [unrolled: 1-line block ×3, first 2 shown]
	s_delay_alu instid0(VALU_DEP_3) | instskip(NEXT) | instid1(VALU_DEP_2)
	v_dual_sub_f32 v66, v70, v66 :: v_dual_add_f32 v71, v67, v84
	v_dual_add_f32 v72, v64, v84 :: v_dual_fmac_f32 v59, 0x3ee1c552, v75
	s_delay_alu instid0(VALU_DEP_2) | instskip(SKIP_1) | instid1(VALU_DEP_2)
	v_fma_f32 v69, 0x3f5ff5aa, v66, -v81
	v_mul_f32_e32 v66, 0x3f5ff5aa, v66
	v_fmac_f32_e32 v69, 0x3ee1c552, v83
	s_delay_alu instid0(VALU_DEP_2) | instskip(SKIP_1) | instid1(VALU_DEP_1)
	v_fma_f32 v70, 0xbeae86e6, v82, -v66
	v_mul_f32_e32 v66, 0x3d64c772, v74
	v_fma_f32 v66, 0x3f3bfb3b, v65, -v66
	v_fma_f32 v65, 0xbf3bfb3b, v65, -v73
	s_delay_alu instid0(VALU_DEP_2) | instskip(NEXT) | instid1(VALU_DEP_2)
	v_add_f32_e32 v74, v66, v91
	v_add_f32_e32 v73, v65, v91
	v_fmac_f32_e32 v68, 0x3ee1c552, v75
	v_fmac_f32_e32 v70, 0x3ee1c552, v83
	s_delay_alu instid0(VALU_DEP_3) | instskip(NEXT) | instid1(VALU_DEP_2)
	v_dual_sub_f32 v66, v71, v69 :: v_dual_sub_f32 v65, v73, v59
	v_dual_add_f32 v67, v68, v74 :: v_dual_add_f32 v64, v70, v72
	ds_store_2addr_b64 v252, v[64:65], v[66:67] offset0:80 offset1:120
	v_add_f32_e32 v64, v69, v71
	v_dual_sub_f32 v66, v72, v70 :: v_dual_add_f32 v67, v59, v73
	v_sub_f32_e32 v65, v74, v68
	v_dual_sub_f32 v59, v87, v208 :: v_dual_sub_f32 v58, v60, v58
	v_dual_sub_f32 v60, v63, v61 :: v_dual_sub_f32 v61, v77, v62
	v_sub_f32_e32 v63, v215, v217
	ds_store_2addr_b64 v252, v[64:65], v[66:67] offset0:160 offset1:200
	v_dual_sub_f32 v64, v95, v94 :: v_dual_sub_f32 v67, v220, v219
	v_add_f32_e32 v65, v93, v96
	v_dual_sub_f32 v69, v221, v220 :: v_dual_sub_f32 v62, v216, v215
	v_sub_f32_e32 v68, v219, v221
	ds_store_b64 v252, v[64:65] offset:1920
	v_sub_f32_e32 v65, v76, v78
	v_sub_f32_e32 v64, v212, v86
	s_delay_alu instid0(VALU_DEP_2) | instskip(SKIP_3) | instid1(VALU_DEP_3)
	v_dual_sub_f32 v66, v217, v216 :: v_dual_sub_f32 v71, v60, v65
	v_add_f32_e32 v70, v60, v65
	v_dual_sub_f32 v60, v59, v60 :: v_dual_sub_f32 v65, v65, v59
	v_sub_f32_e32 v72, v61, v58
	v_dual_add_f32 v70, v70, v59 :: v_dual_add_f32 v59, v61, v58
	v_dual_sub_f32 v61, v64, v61 :: v_dual_sub_f32 v58, v58, v64
	s_delay_alu instid0(VALU_DEP_2) | instskip(SKIP_1) | instid1(VALU_DEP_1)
	v_add_f32_e32 v73, v59, v64
	v_mul_f32_e32 v59, 0x3f4a47b2, v63
	v_dual_mul_f32 v63, 0x3d64c772, v66 :: v_dual_fmamk_f32 v64, v66, 0x3d64c772, v59
	v_fma_f32 v74, 0xbf3bfb3b, v62, -v59
	v_mul_f32_e32 v59, 0x3f4a47b2, v68
	s_delay_alu instid0(VALU_DEP_3) | instskip(NEXT) | instid1(VALU_DEP_2)
	v_fma_f32 v66, 0x3f3bfb3b, v62, -v63
	v_fmamk_f32 v68, v69, 0x3d64c772, v59
	v_fma_f32 v75, 0xbf3bfb3b, v67, -v59
	v_mul_f32_e32 v59, 0xbf08b237, v71
	v_fmamk_f32 v71, v222, 0xbf955555, v57
	v_mul_f32_e32 v62, 0x3d64c772, v69
	s_delay_alu instid0(VALU_DEP_1) | instskip(SKIP_3) | instid1(VALU_DEP_4)
	v_fma_f32 v69, 0x3f3bfb3b, v67, -v62
	v_dual_mul_f32 v62, 0x3f5ff5aa, v65 :: v_dual_mul_f32 v67, 0x3f5ff5aa, v58
	v_fma_f32 v65, 0x3f5ff5aa, v65, -v59
	v_fmamk_f32 v59, v60, 0x3eae86e6, v59
	v_add_f32_e32 v69, v69, v71
	s_delay_alu instid0(VALU_DEP_4) | instskip(NEXT) | instid1(VALU_DEP_4)
	v_fma_f32 v60, 0xbeae86e6, v60, -v62
	v_fmac_f32_e32 v65, 0x3ee1c552, v70
	v_mul_f32_e32 v62, 0xbf08b237, v72
	s_delay_alu instid0(VALU_DEP_1)
	v_fma_f32 v63, 0x3f5ff5aa, v58, -v62
	v_fmamk_f32 v62, v61, 0x3eae86e6, v62
	v_fma_f32 v58, 0xbeae86e6, v61, -v67
	v_fmamk_f32 v61, v218, 0xbf955555, v56
	v_add_f32_e32 v67, v68, v71
	v_dual_add_f32 v68, v75, v71 :: v_dual_fmac_f32 v59, 0x3ee1c552, v70
	v_dual_fmac_f32 v60, 0x3ee1c552, v70 :: v_dual_fmac_f32 v63, 0x3ee1c552, v73
	s_delay_alu instid0(VALU_DEP_4) | instskip(SKIP_2) | instid1(VALU_DEP_4)
	v_add_f32_e32 v64, v64, v61
	v_add_f32_e32 v66, v66, v61
	;; [unrolled: 1-line block ×3, first 2 shown]
	v_dual_add_f32 v75, v60, v68 :: v_dual_fmac_f32 v58, 0x3ee1c552, v73
	v_fmac_f32_e32 v62, 0x3ee1c552, v73
	s_delay_alu instid0(VALU_DEP_4) | instskip(SKIP_1) | instid1(VALU_DEP_4)
	v_dual_add_f32 v72, v63, v66 :: v_dual_sub_f32 v73, v69, v65
	v_add_f32_e32 v208, v59, v67
	v_sub_f32_e32 v74, v61, v58
	s_delay_alu instid0(VALU_DEP_4)
	v_sub_f32_e32 v207, v64, v62
	s_and_saveexec_b32 s1, s0
	s_cbranch_execz .LBB0_19
; %bb.18:
	v_dual_add_f32 v70, v65, v69 :: v_dual_lshlrev_b32 v65, 3, v232
	v_dual_sub_f32 v69, v66, v63 :: v_dual_sub_f32 v60, v68, v60
	v_dual_sub_f32 v63, v67, v59 :: v_dual_add_f32 v62, v62, v64
	s_delay_alu instid0(VALU_DEP_3)
	v_add_nc_u32_e32 v64, 0x2000, v65
	v_add_f32_e32 v59, v58, v61
	v_add_nc_u32_e32 v58, 0x2800, v65
	ds_store_2addr_b64 v64, v[56:57], v[62:63] offset0:96 offset1:136
	ds_store_2addr_b64 v64, v[59:60], v[69:70] offset0:176 offset1:216
	ds_store_2addr_b64 v58, v[72:73], v[74:75] offset1:40
	ds_store_b64 v65, v[207:208] offset:10880
.LBB0_19:
	s_wait_alu 0xfffe
	s_or_b32 exec_lo, exec_lo, s1
	v_lshlrev_b32_e32 v60, 5, v211
	v_lshlrev_b32_e32 v64, 5, v90
	global_wb scope:SCOPE_SE
	s_wait_dscnt 0x0
	s_barrier_signal -1
	s_barrier_wait -1
	global_inv scope:SCOPE_SE
	s_clause 0x3
	global_load_b128 v[68:71], v60, s[2:3] offset:2224
	global_load_b128 v[56:59], v64, s[2:3] offset:2224
	;; [unrolled: 1-line block ×4, first 2 shown]
	v_add_nc_u32_e32 v130, 0x1000, v209
	v_add_nc_u32_e32 v112, 0x2000, v209
	ds_load_2addr_b64 v[80:83], v130 offset0:48 offset1:104
	ds_load_2addr_b64 v[93:96], v112 offset0:96 offset1:152
	v_lshlrev_b32_e32 v89, 5, v89
	s_wait_loadcnt_dscnt 0x301
	v_dual_mul_f32 v86, v81, v71 :: v_dual_add_nc_u32 v113, 0x800, v209
	v_mul_f32_e32 v84, v80, v71
	global_load_b128 v[76:79], v89, s[2:3] offset:2224
	s_wait_loadcnt_dscnt 0x100
	v_mul_f32_e32 v97, v96, v67
	v_mul_f32_e32 v91, v94, v63
	v_fma_f32 v87, v80, v70, -v86
	v_add_nc_u32_e32 v115, 0x400, v209
	v_mul_f32_e32 v85, v93, v63
	v_dual_fmac_f32 v84, v81, v70 :: v_dual_mul_f32 v121, v95, v67
	v_fma_f32 v123, v95, v66, -v97
	ds_load_2addr_b64 v[100:103], v115 offset0:96 offset1:152
	v_mul_f32_e32 v90, v83, v59
	v_fma_f32 v86, v93, v62, -v91
	v_fmac_f32_e32 v121, v96, v66
	v_fmac_f32_e32 v85, v94, v62
	ds_load_2addr_b64 v[93:96], v113 offset0:80 offset1:136
	v_mul_f32_e32 v120, v82, v59
	v_fma_f32 v122, v82, v58, -v90
	s_wait_dscnt 0x1
	s_delay_alu instid0(VALU_DEP_2) | instskip(NEXT) | instid1(VALU_DEP_1)
	v_dual_fmac_f32 v120, v83, v58 :: v_dual_mul_f32 v97, v102, v69
	v_dual_fmac_f32 v97, v103, v68 :: v_dual_add_nc_u32 v114, 0x1800, v209
	ds_load_2addr_b64 v[104:107], v114 offset0:16 offset1:72
	s_wait_dscnt 0x0
	v_mul_f32_e32 v91, v106, v61
	v_mul_f32_e32 v80, v94, v57
	;; [unrolled: 1-line block ×3, first 2 shown]
	s_delay_alu instid0(VALU_DEP_3) | instskip(NEXT) | instid1(VALU_DEP_3)
	v_fmac_f32_e32 v91, v107, v60
	v_fma_f32 v125, v93, v56, -v80
	global_load_b128 v[80:83], v89, s[2:3] offset:2240
	v_mul_f32_e32 v124, v93, v57
	v_fma_f32 v90, v106, v60, -v90
	v_dual_sub_f32 v212, v84, v91 :: v_dual_sub_f32 v215, v97, v85
	s_delay_alu instid0(VALU_DEP_3) | instskip(NEXT) | instid1(VALU_DEP_3)
	v_fmac_f32_e32 v124, v94, v56
	v_sub_f32_e32 v150, v87, v90
	v_sub_f32_e32 v131, v90, v86
	s_wait_loadcnt 0x1
	v_mul_f32_e32 v89, v96, v77
	v_mul_f32_e32 v116, v95, v77
	s_delay_alu instid0(VALU_DEP_2) | instskip(NEXT) | instid1(VALU_DEP_2)
	v_fma_f32 v117, v95, v76, -v89
	v_fmac_f32_e32 v116, v96, v76
	ds_load_2addr_b64 v[93:96], v114 offset0:128 offset1:184
	s_wait_dscnt 0x0
	v_mul_f32_e32 v89, v94, v65
	v_mul_f32_e32 v126, v93, v65
	s_delay_alu instid0(VALU_DEP_2) | instskip(NEXT) | instid1(VALU_DEP_2)
	v_fma_f32 v127, v93, v64, -v89
	v_fmac_f32_e32 v126, v94, v64
	s_delay_alu instid0(VALU_DEP_2) | instskip(SKIP_4) | instid1(VALU_DEP_3)
	v_sub_f32_e32 v223, v122, v127
	s_wait_loadcnt 0x0
	v_mul_f32_e32 v89, v96, v81
	v_mul_f32_e32 v119, v95, v81
	v_sub_f32_e32 v226, v124, v121
	v_fma_f32 v118, v95, v80, -v89
	v_mul_f32_e32 v89, v103, v69
	s_delay_alu instid0(VALU_DEP_4) | instskip(SKIP_4) | instid1(VALU_DEP_1)
	v_fmac_f32_e32 v119, v96, v80
	ds_load_2addr_b64 v[93:96], v209 offset1:56
	v_add_f32_e32 v103, v87, v90
	v_sub_f32_e32 v222, v120, v126
	v_fma_f32 v89, v102, v68, -v89
	v_add_f32_e32 v106, v89, v86
	v_sub_f32_e32 v102, v89, v87
	v_sub_f32_e32 v151, v89, v86
	s_wait_dscnt 0x0
	v_add_f32_e32 v98, v93, v89
	v_add_f32_e32 v99, v94, v97
	s_delay_alu instid0(VALU_DEP_1) | instskip(NEXT) | instid1(VALU_DEP_1)
	v_dual_add_f32 v98, v98, v87 :: v_dual_add_f32 v99, v99, v84
	v_dual_sub_f32 v87, v87, v89 :: v_dual_add_f32 v98, v98, v90
	s_delay_alu instid0(VALU_DEP_2) | instskip(SKIP_1) | instid1(VALU_DEP_2)
	v_add_f32_e32 v99, v99, v91
	v_sub_f32_e32 v107, v86, v90
	v_dual_add_f32 v89, v98, v86 :: v_dual_add_f32 v90, v99, v85
	v_dual_add_f32 v86, v84, v91 :: v_dual_sub_f32 v99, v97, v84
	v_sub_f32_e32 v84, v84, v97
	v_add_f32_e32 v132, v97, v85
	v_fma_f32 v97, -0.5, v103, v93
	v_fma_f32 v93, -0.5, v106, v93
	v_sub_f32_e32 v133, v85, v91
	v_fma_f32 v98, -0.5, v86, v94
	v_add_f32_e32 v103, v87, v131
	v_add_nc_u32_e32 v131, 0x2400, v209
	v_fmamk_f32 v148, v212, 0xbf737871, v93
	v_fmamk_f32 v106, v215, 0x3f737871, v97
	v_sub_f32_e32 v85, v91, v85
	v_add_f32_e32 v91, v102, v107
	v_fma_f32 v94, -0.5, v132, v94
	v_fmac_f32_e32 v97, 0xbf737871, v215
	v_fmamk_f32 v107, v151, 0xbf737871, v98
	v_fmac_f32_e32 v148, 0x3f167918, v215
	v_dual_fmac_f32 v93, 0x3f737871, v212 :: v_dual_fmac_f32 v98, 0x3f737871, v151
	v_fmamk_f32 v149, v150, 0x3f737871, v94
	v_fmac_f32_e32 v94, 0xbf737871, v150
	v_fmac_f32_e32 v106, 0x3f167918, v212
	v_add_f32_e32 v140, v84, v85
	v_add_f32_e32 v99, v99, v133
	v_fmac_f32_e32 v97, 0xbf167918, v212
	v_add_nc_u32_e32 v102, 0x1c00, v209
	v_fmac_f32_e32 v107, 0xbf167918, v150
	v_fmac_f32_e32 v149, 0xbf167918, v151
	;; [unrolled: 1-line block ×5, first 2 shown]
	v_add_f32_e32 v91, v95, v125
	v_fmac_f32_e32 v93, 0xbf167918, v215
	v_fmac_f32_e32 v94, 0x3f167918, v151
	ds_load_2addr_b64 v[84:87], v130 offset0:160 offset1:216
	ds_load_2addr_b64 v[132:135], v131 offset0:80 offset1:136
	;; [unrolled: 1-line block ×3, first 2 shown]
	v_fmac_f32_e32 v98, 0x3f167918, v150
	v_add_f32_e32 v91, v91, v122
	v_dual_fmac_f32 v107, 0x3e9e377a, v99 :: v_dual_fmac_f32 v94, 0x3e9e377a, v140
	v_fmac_f32_e32 v149, 0x3e9e377a, v140
	v_fmac_f32_e32 v93, 0x3e9e377a, v103
	;; [unrolled: 1-line block ×3, first 2 shown]
	ds_store_b64 v209, v[106:107] offset:2240
	ds_load_2addr_b64 v[140:143], v209 offset0:112 offset1:168
	ds_load_2addr_b64 v[144:147], v113 offset0:192 offset1:248
	ds_store_b64 v209, v[148:149] offset:4480
	ds_store_b64 v209, v[93:94] offset:6720
	;; [unrolled: 1-line block ×3, first 2 shown]
	v_add_f32_e32 v93, v96, v124
	v_add_f32_e32 v91, v91, v127
	ds_load_b64 v[106:107], v209 offset:10752
	v_sub_f32_e32 v227, v125, v123
	s_wait_dscnt 0x9
	v_dual_add_f32 v93, v93, v120 :: v_dual_mul_f32 v220, v84, v79
	s_wait_dscnt 0x8
	s_delay_alu instid0(VALU_DEP_1) | instskip(NEXT) | instid1(VALU_DEP_2)
	v_dual_mul_f32 v219, v132, v83 :: v_dual_add_f32 v94, v93, v126
	v_dual_add_f32 v93, v91, v123 :: v_dual_fmac_f32 v220, v85, v78
	s_delay_alu instid0(VALU_DEP_2) | instskip(NEXT) | instid1(VALU_DEP_2)
	v_dual_fmac_f32 v219, v133, v82 :: v_dual_add_f32 v94, v94, v121
	v_sub_f32_e32 v224, v220, v119
	s_delay_alu instid0(VALU_DEP_2) | instskip(SKIP_3) | instid1(VALU_DEP_2)
	v_sub_f32_e32 v228, v116, v219
	ds_store_2addr_b64 v209, v[89:90], v[93:94] offset1:56
	v_add_f32_e32 v89, v122, v127
	v_add_f32_e32 v90, v125, v123
	v_fma_f32 v148, -0.5, v89, v95
	s_delay_alu instid0(VALU_DEP_2) | instskip(SKIP_1) | instid1(VALU_DEP_1)
	v_fma_f32 v95, -0.5, v90, v95
	v_dual_sub_f32 v89, v122, v125 :: v_dual_sub_f32 v90, v127, v123
	v_add_f32_e32 v212, v89, v90
	v_dual_add_f32 v89, v120, v126 :: v_dual_sub_f32 v90, v126, v121
	s_delay_alu instid0(VALU_DEP_1) | instskip(SKIP_1) | instid1(VALU_DEP_1)
	v_fma_f32 v149, -0.5, v89, v96
	v_add_f32_e32 v89, v124, v121
	v_dual_fmac_f32 v96, -0.5, v89 :: v_dual_sub_f32 v89, v120, v124
	s_delay_alu instid0(VALU_DEP_1) | instskip(SKIP_1) | instid1(VALU_DEP_1)
	v_add_f32_e32 v215, v89, v90
	v_mul_f32_e32 v89, v85, v79
	v_fma_f32 v216, v84, v78, -v89
	v_mul_f32_e32 v89, v133, v83
	v_fmamk_f32 v133, v223, 0x3f737871, v96
	v_fmac_f32_e32 v96, 0xbf737871, v223
	v_sub_f32_e32 v84, v220, v116
	v_sub_f32_e32 v225, v216, v118
	v_fma_f32 v217, v132, v82, -v89
	s_delay_alu instid0(VALU_DEP_4) | instskip(SKIP_1) | instid1(VALU_DEP_3)
	v_dual_sub_f32 v89, v216, v117 :: v_dual_fmac_f32 v96, 0x3f167918, v227
	v_fmamk_f32 v132, v222, 0xbf737871, v95
	v_dual_fmac_f32 v95, 0x3f737871, v222 :: v_dual_sub_f32 v90, v118, v217
	s_delay_alu instid0(VALU_DEP_3) | instskip(NEXT) | instid1(VALU_DEP_3)
	v_dual_sub_f32 v229, v117, v217 :: v_dual_fmac_f32 v96, 0x3e9e377a, v215
	v_fmac_f32_e32 v132, 0x3f167918, v226
	s_delay_alu instid0(VALU_DEP_3) | instskip(SKIP_1) | instid1(VALU_DEP_3)
	v_add_f32_e32 v218, v89, v90
	v_dual_add_f32 v89, v117, v217 :: v_dual_add_f32 v90, v116, v219
	v_fmac_f32_e32 v132, 0x3e9e377a, v212
	s_wait_dscnt 0x6
	s_delay_alu instid0(VALU_DEP_2) | instskip(NEXT) | instid1(VALU_DEP_3)
	v_fma_f32 v89, -0.5, v89, v140
	v_fma_f32 v90, -0.5, v90, v141
	s_delay_alu instid0(VALU_DEP_2) | instskip(SKIP_1) | instid1(VALU_DEP_3)
	v_dual_sub_f32 v85, v119, v219 :: v_dual_fmamk_f32 v150, v224, 0xbf737871, v89
	v_fmac_f32_e32 v89, 0x3f737871, v224
	v_fmamk_f32 v151, v225, 0x3f737871, v90
	v_fmac_f32_e32 v90, 0xbf737871, v225
	s_delay_alu instid0(VALU_DEP_4) | instskip(SKIP_2) | instid1(VALU_DEP_4)
	v_dual_add_f32 v221, v84, v85 :: v_dual_lshlrev_b32 v84, 5, v88
	v_fmac_f32_e32 v95, 0xbf167918, v226
	v_fmac_f32_e32 v89, 0xbf167918, v228
	v_fmac_f32_e32 v90, 0x3f167918, v229
	s_delay_alu instid0(VALU_DEP_3) | instskip(NEXT) | instid1(VALU_DEP_2)
	v_fmac_f32_e32 v95, 0x3e9e377a, v212
	v_dual_fmac_f32 v89, 0x3e9e377a, v218 :: v_dual_fmac_f32 v90, 0x3e9e377a, v221
	ds_store_2addr_b64 v114, v[95:96], v[89:90] offset0:128 offset1:184
	s_clause 0x1
	global_load_b128 v[96:99], v84, s[2:3] offset:2224
	global_load_b128 v[88:91], v84, s[2:3] offset:2240
	s_wait_loadcnt 0x1
	v_mul_f32_e32 v84, v87, v99
	v_mul_f32_e32 v253, v86, v99
	s_wait_dscnt 0x6
	v_mul_f32_e32 v85, v145, v97
	s_delay_alu instid0(VALU_DEP_3) | instskip(SKIP_3) | instid1(VALU_DEP_2)
	v_fma_f32 v230, v86, v98, -v84
	s_wait_loadcnt 0x0
	v_mul_f32_e32 v84, v135, v91
	v_fmac_f32_e32 v253, v87, v98
	v_fma_f32 v254, v134, v90, -v84
	v_mul_f32_e32 v134, v134, v91
	v_lshlrev_b32_e32 v84, 5, v92
	s_delay_alu instid0(VALU_DEP_2)
	v_fmac_f32_e32 v134, v135, v90
	v_fma_f32 v135, v144, v96, -v85
	s_clause 0x1
	global_load_b128 v[92:95], v84, s[2:3] offset:2224
	global_load_b128 v[84:87], v84, s[2:3] offset:2240
	v_dual_mul_f32 v144, v144, v97 :: v_dual_fmac_f32 v133, 0xbf167918, v227
	s_add_nc_u64 s[2:3], s[12:13], 0x2bc0
	s_wait_loadcnt 0x1
	s_delay_alu instid0(VALU_DEP_1) | instskip(SKIP_1) | instid1(VALU_DEP_2)
	v_dual_fmac_f32 v144, v145, v96 :: v_dual_mul_f32 v103, v147, v93
	v_mul_f32_e32 v255, v104, v95
	v_fma_f32 v145, v146, v92, -v103
	v_dual_mul_f32 v146, v146, v93 :: v_dual_mul_f32 v103, v105, v95
	s_delay_alu instid0(VALU_DEP_3) | instskip(SKIP_1) | instid1(VALU_DEP_3)
	v_fmac_f32_e32 v255, v105, v94
	v_dual_sub_f32 v105, v124, v120 :: v_dual_sub_f32 v120, v121, v126
	v_fmac_f32_e32 v146, v147, v92
	v_sub_f32_e32 v121, v219, v119
	s_delay_alu instid0(VALU_DEP_3) | instskip(SKIP_3) | instid1(VALU_DEP_3)
	v_add_f32_e32 v105, v105, v120
	v_sub_f32_e32 v120, v116, v220
	v_fma_f32 v147, v104, v94, -v103
	v_dual_mul_f32 v103, v137, v89 :: v_dual_sub_f32 v104, v123, v127
	v_add_f32_e32 v126, v120, v121
	v_fmamk_f32 v120, v226, 0x3f737871, v148
	s_delay_alu instid0(VALU_DEP_3)
	v_fma_f32 v231, v136, v88, -v103
	v_mul_f32_e32 v136, v136, v89
	s_wait_loadcnt 0x0
	v_mul_f32_e32 v103, v139, v85
	v_dual_fmamk_f32 v121, v227, 0xbf737871, v149 :: v_dual_fmac_f32 v148, 0xbf737871, v226
	v_fmac_f32_e32 v120, 0x3f167918, v222
	v_fmac_f32_e32 v136, v137, v88
	s_delay_alu instid0(VALU_DEP_4) | instskip(SKIP_3) | instid1(VALU_DEP_3)
	v_fma_f32 v137, v138, v84, -v103
	v_sub_f32_e32 v103, v125, v122
	v_dual_fmac_f32 v121, 0xbf167918, v223 :: v_dual_fmac_f32 v148, 0xbf167918, v222
	v_mul_f32_e32 v138, v138, v85
	v_add_f32_e32 v124, v103, v104
	v_sub_f32_e32 v103, v117, v216
	v_sub_f32_e32 v104, v217, v118
	s_delay_alu instid0(VALU_DEP_4) | instskip(NEXT) | instid1(VALU_DEP_4)
	v_fmac_f32_e32 v138, v139, v84
	v_fmac_f32_e32 v120, 0x3e9e377a, v124
	s_delay_alu instid0(VALU_DEP_3) | instskip(SKIP_1) | instid1(VALU_DEP_4)
	v_dual_add_f32 v125, v103, v104 :: v_dual_add_f32 v104, v220, v119
	v_add_f32_e32 v103, v216, v118
	v_sub_f32_e32 v127, v255, v138
	s_delay_alu instid0(VALU_DEP_3) | instskip(SKIP_1) | instid1(VALU_DEP_4)
	v_fma_f32 v104, -0.5, v104, v141
	v_fmac_f32_e32 v149, 0x3f737871, v227
	v_fma_f32 v103, -0.5, v103, v140
	s_delay_alu instid0(VALU_DEP_3) | instskip(SKIP_1) | instid1(VALU_DEP_4)
	v_fmamk_f32 v123, v229, 0xbf737871, v104
	v_fmac_f32_e32 v104, 0x3f737871, v229
	v_dual_fmac_f32 v150, 0x3f167918, v228 :: v_dual_fmac_f32 v149, 0x3f167918, v223
	s_delay_alu instid0(VALU_DEP_4) | instskip(SKIP_2) | instid1(VALU_DEP_4)
	v_fmamk_f32 v122, v228, 0x3f737871, v103
	v_dual_fmac_f32 v121, 0x3e9e377a, v105 :: v_dual_fmac_f32 v148, 0x3e9e377a, v124
	v_fmac_f32_e32 v103, 0xbf737871, v228
	v_fmac_f32_e32 v149, 0x3e9e377a, v105
	v_dual_add_f32 v105, v142, v135 :: v_dual_fmac_f32 v104, 0x3f167918, v225
	v_fmac_f32_e32 v122, 0x3f167918, v224
	v_fmac_f32_e32 v150, 0x3e9e377a, v218
	s_delay_alu instid0(VALU_DEP_3) | instskip(NEXT) | instid1(VALU_DEP_1)
	v_add_f32_e32 v105, v105, v230
	v_dual_fmac_f32 v104, 0x3e9e377a, v126 :: v_dual_add_f32 v105, v105, v231
	v_fmac_f32_e32 v103, 0xbf167918, v224
	s_delay_alu instid0(VALU_DEP_1) | instskip(SKIP_3) | instid1(VALU_DEP_2)
	v_fmac_f32_e32 v103, 0x3e9e377a, v125
	ds_store_2addr_b64 v112, v[148:149], v[103:104] offset0:152 offset1:208
	v_dual_add_f32 v104, v141, v116 :: v_dual_add_f32 v103, v140, v117
	v_dual_add_f32 v116, v143, v144 :: v_dual_fmac_f32 v133, 0x3e9e377a, v215
	v_dual_add_f32 v104, v104, v220 :: v_dual_fmac_f32 v123, 0xbf167918, v225
	s_delay_alu instid0(VALU_DEP_2) | instskip(NEXT) | instid1(VALU_DEP_2)
	v_dual_add_f32 v103, v103, v216 :: v_dual_add_f32 v116, v116, v253
	v_dual_add_f32 v104, v104, v119 :: v_dual_fmac_f32 v151, 0xbf167918, v229
	s_delay_alu instid0(VALU_DEP_2) | instskip(NEXT) | instid1(VALU_DEP_3)
	v_add_f32_e32 v103, v103, v118
	v_dual_add_f32 v117, v116, v136 :: v_dual_fmac_f32 v122, 0x3e9e377a, v125
	s_delay_alu instid0(VALU_DEP_3) | instskip(NEXT) | instid1(VALU_DEP_4)
	v_dual_fmac_f32 v123, 0x3e9e377a, v126 :: v_dual_add_f32 v104, v104, v219
	v_fmac_f32_e32 v151, 0x3e9e377a, v221
	s_delay_alu instid0(VALU_DEP_4) | instskip(NEXT) | instid1(VALU_DEP_4)
	v_dual_add_f32 v103, v103, v217 :: v_dual_add_f32 v116, v105, v254
	v_add_f32_e32 v117, v117, v134
	ds_store_2addr_b64 v113, v[120:121], v[122:123] offset0:80 offset1:136
	ds_store_2addr_b64 v130, v[132:133], v[150:151] offset0:104 offset1:160
	s_wait_dscnt 0x5
	v_mul_f32_e32 v121, v106, v87
	v_sub_f32_e32 v133, v144, v134
	ds_store_2addr_b64 v209, v[103:104], v[116:117] offset0:112 offset1:168
	v_mul_f32_e32 v103, v107, v87
	v_add_f32_e32 v104, v135, v254
	v_sub_f32_e32 v139, v135, v254
	v_sub_f32_e32 v125, v253, v136
	v_fmac_f32_e32 v121, v107, v86
	v_fma_f32 v120, v106, v86, -v103
	v_add_f32_e32 v103, v230, v231
	v_sub_f32_e32 v105, v231, v254
	v_sub_f32_e32 v106, v136, v134
	v_sub_f32_e32 v126, v230, v231
	v_sub_f32_e32 v132, v147, v137
	v_fma_f32 v103, -0.5, v103, v142
	v_fma_f32 v142, -0.5, v104, v142
	v_sub_f32_e32 v104, v230, v135
	v_dual_sub_f32 v116, v137, v120 :: v_dual_sub_f32 v117, v138, v121
	s_delay_alu instid0(VALU_DEP_2) | instskip(SKIP_1) | instid1(VALU_DEP_2)
	v_dual_add_f32 v107, v104, v105 :: v_dual_add_f32 v104, v253, v136
	v_add_f32_e32 v105, v144, v134
	v_fma_f32 v104, -0.5, v104, v143
	s_delay_alu instid0(VALU_DEP_2) | instskip(SKIP_1) | instid1(VALU_DEP_1)
	v_fmac_f32_e32 v143, -0.5, v105
	v_sub_f32_e32 v105, v253, v144
	v_dual_add_f32 v122, v105, v106 :: v_dual_add_f32 v105, v147, v137
	v_add_f32_e32 v106, v255, v138
	s_delay_alu instid0(VALU_DEP_2) | instskip(SKIP_1) | instid1(VALU_DEP_3)
	v_fma_f32 v148, -0.5, v105, v100
	v_add_f32_e32 v105, v145, v120
	v_fma_f32 v149, -0.5, v106, v101
	v_add_f32_e32 v106, v100, v145
	s_delay_alu instid0(VALU_DEP_3) | instskip(SKIP_1) | instid1(VALU_DEP_1)
	v_fma_f32 v100, -0.5, v105, v100
	v_sub_f32_e32 v105, v147, v145
	v_dual_fmamk_f32 v118, v127, 0xbf737871, v100 :: v_dual_add_f32 v123, v105, v116
	v_dual_add_f32 v105, v146, v121 :: v_dual_add_f32 v116, v101, v146
	s_delay_alu instid0(VALU_DEP_1) | instskip(SKIP_1) | instid1(VALU_DEP_1)
	v_fmac_f32_e32 v101, -0.5, v105
	v_sub_f32_e32 v105, v255, v146
	v_dual_add_f32 v124, v105, v117 :: v_dual_add_f32 v105, v106, v147
	s_delay_alu instid0(VALU_DEP_4) | instskip(SKIP_3) | instid1(VALU_DEP_4)
	v_add_f32_e32 v106, v116, v255
	v_fmamk_f32 v116, v125, 0xbf737871, v142
	v_fmac_f32_e32 v142, 0x3f737871, v125
	v_sub_f32_e32 v140, v146, v121
	v_add_f32_e32 v106, v106, v138
	s_delay_alu instid0(VALU_DEP_4) | instskip(NEXT) | instid1(VALU_DEP_4)
	v_fmac_f32_e32 v116, 0x3f167918, v133
	v_fmac_f32_e32 v142, 0xbf167918, v133
	s_delay_alu instid0(VALU_DEP_4) | instskip(NEXT) | instid1(VALU_DEP_4)
	v_dual_add_f32 v105, v105, v137 :: v_dual_fmac_f32 v118, 0x3f167918, v140
	v_add_f32_e32 v106, v106, v121
	s_delay_alu instid0(VALU_DEP_4) | instskip(NEXT) | instid1(VALU_DEP_4)
	v_fmac_f32_e32 v116, 0x3e9e377a, v107
	v_dual_fmac_f32 v142, 0x3e9e377a, v107 :: v_dual_sub_f32 v107, v135, v230
	v_sub_f32_e32 v135, v146, v255
	v_sub_f32_e32 v121, v121, v138
	v_fmamk_f32 v117, v126, 0x3f737871, v143
	v_fmac_f32_e32 v143, 0xbf737871, v126
	v_fmac_f32_e32 v118, 0x3e9e377a, v123
	s_delay_alu instid0(VALU_DEP_3) | instskip(NEXT) | instid1(VALU_DEP_3)
	v_fmac_f32_e32 v117, 0xbf167918, v139
	v_fmac_f32_e32 v143, 0x3f167918, v139
	s_delay_alu instid0(VALU_DEP_2) | instskip(NEXT) | instid1(VALU_DEP_2)
	v_fmac_f32_e32 v117, 0x3e9e377a, v122
	v_dual_fmac_f32 v143, 0x3e9e377a, v122 :: v_dual_sub_f32 v122, v134, v136
	v_fmac_f32_e32 v100, 0x3f737871, v127
	v_sub_f32_e32 v134, v145, v147
	ds_store_b64 v209, v[116:117] offset:5824
	v_dual_sub_f32 v116, v254, v231 :: v_dual_add_f32 v105, v105, v120
	v_fmac_f32_e32 v100, 0xbf167918, v140
	v_dual_sub_f32 v141, v145, v120 :: v_dual_sub_f32 v120, v120, v137
	s_delay_alu instid0(VALU_DEP_3) | instskip(SKIP_1) | instid1(VALU_DEP_3)
	v_dual_add_f32 v107, v107, v116 :: v_dual_fmamk_f32 v116, v133, 0x3f737871, v103
	v_fmac_f32_e32 v103, 0xbf737871, v133
	v_dual_fmac_f32 v100, 0x3e9e377a, v123 :: v_dual_add_f32 v133, v134, v120
	v_fmamk_f32 v120, v140, 0x3f737871, v148
	v_dual_sub_f32 v117, v144, v253 :: v_dual_fmac_f32 v148, 0xbf737871, v140
	s_delay_alu instid0(VALU_DEP_2) | instskip(NEXT) | instid1(VALU_DEP_2)
	v_fmac_f32_e32 v120, 0x3f167918, v127
	v_dual_fmamk_f32 v119, v132, 0x3f737871, v101 :: v_dual_add_f32 v122, v117, v122
	v_fmamk_f32 v117, v139, 0xbf737871, v104
	v_fmac_f32_e32 v104, 0x3f737871, v139
	s_delay_alu instid0(VALU_DEP_4)
	v_fmac_f32_e32 v120, 0x3e9e377a, v133
	v_dual_add_f32 v134, v135, v121 :: v_dual_fmamk_f32 v121, v141, 0xbf737871, v149
	v_fmac_f32_e32 v101, 0xbf737871, v132
	v_fmac_f32_e32 v149, 0x3f737871, v141
	v_dual_fmac_f32 v119, 0xbf167918, v141 :: v_dual_fmac_f32 v148, 0xbf167918, v127
	v_fmac_f32_e32 v103, 0xbf167918, v125
	v_fmac_f32_e32 v104, 0x3f167918, v126
	;; [unrolled: 1-line block ×7, first 2 shown]
	v_dual_fmac_f32 v119, 0x3e9e377a, v124 :: v_dual_fmac_f32 v104, 0x3e9e377a, v122
	v_fmac_f32_e32 v103, 0x3e9e377a, v107
	v_dual_fmac_f32 v116, 0x3e9e377a, v107 :: v_dual_fmac_f32 v117, 0x3e9e377a, v122
	v_fmac_f32_e32 v121, 0x3e9e377a, v134
	;; [unrolled: 2-line block ×3, first 2 shown]
	ds_store_b64 v209, v[142:143] offset:8064
	ds_store_b64 v209, v[103:104] offset:10304
	ds_store_2addr_b64 v113, v[116:117], v[120:121] offset0:192 offset1:248
	ds_store_b64 v209, v[100:101] offset:8512
	ds_store_b64 v209, v[105:106] offset:1792
	ds_store_b64 v209, v[118:119] offset:6272
	ds_store_b64 v209, v[148:149] offset:10752
	v_lshlrev_b32_e32 v100, 3, v211
	global_wb scope:SCOPE_SE
	s_wait_dscnt 0x0
	s_barrier_signal -1
	s_barrier_wait -1
	global_inv scope:SCOPE_SE
	s_clause 0x3
	global_load_b64 v[116:117], v[152:153], off offset:11200
	global_load_b64 v[118:119], v100, s[2:3] offset:448
	global_load_b64 v[120:121], v100, s[2:3] offset:896
	;; [unrolled: 1-line block ×3, first 2 shown]
	ds_load_2addr_b64 v[103:106], v209 offset1:56
	s_wait_loadcnt_dscnt 0x300
	v_mul_f32_e32 v101, v104, v117
	v_mul_f32_e32 v125, v103, v117
	s_wait_loadcnt 0x2
	v_mul_f32_e32 v117, v105, v119
	s_delay_alu instid0(VALU_DEP_3) | instskip(NEXT) | instid1(VALU_DEP_3)
	v_fma_f32 v124, v103, v116, -v101
	v_fmac_f32_e32 v125, v104, v116
	v_mul_f32_e32 v101, v106, v119
	s_delay_alu instid0(VALU_DEP_4)
	v_fmac_f32_e32 v117, v106, v118
	ds_store_b64 v209, v[124:125]
	v_fma_f32 v116, v105, v118, -v101
	s_clause 0x3
	global_load_b64 v[118:119], v100, s[2:3] offset:5600
	global_load_b64 v[124:125], v100, s[2:3] offset:6048
	;; [unrolled: 1-line block ×4, first 2 shown]
	ds_load_2addr_b64 v[103:106], v130 offset0:188 offset1:244
	s_wait_loadcnt_dscnt 0x300
	v_mul_f32_e32 v101, v104, v119
	v_mul_f32_e32 v135, v103, v119
	s_wait_loadcnt 0x2
	v_mul_f32_e32 v119, v105, v125
	s_delay_alu instid0(VALU_DEP_3) | instskip(SKIP_2) | instid1(VALU_DEP_4)
	v_fma_f32 v134, v103, v118, -v101
	v_mul_f32_e32 v101, v106, v125
	v_fmac_f32_e32 v135, v104, v118
	v_fmac_f32_e32 v119, v106, v124
	s_delay_alu instid0(VALU_DEP_3)
	v_fma_f32 v118, v105, v124, -v101
	ds_load_2addr_b64 v[103:106], v209 offset0:112 offset1:168
	s_wait_dscnt 0x0
	v_mul_f32_e32 v101, v104, v121
	v_mul_f32_e32 v125, v103, v121
	;; [unrolled: 1-line block ×3, first 2 shown]
	s_delay_alu instid0(VALU_DEP_3) | instskip(SKIP_1) | instid1(VALU_DEP_4)
	v_fma_f32 v124, v103, v120, -v101
	v_mul_f32_e32 v101, v106, v123
	v_fmac_f32_e32 v125, v104, v120
	s_delay_alu instid0(VALU_DEP_4) | instskip(NEXT) | instid1(VALU_DEP_3)
	v_fmac_f32_e32 v121, v106, v122
	v_fma_f32 v120, v105, v122, -v101
	ds_load_2addr_b64 v[103:106], v114 offset0:44 offset1:100
	s_wait_loadcnt_dscnt 0x100
	v_mul_f32_e32 v101, v104, v127
	v_mul_f32_e32 v123, v103, v127
	s_wait_loadcnt 0x0
	v_mul_f32_e32 v127, v105, v133
	s_delay_alu instid0(VALU_DEP_3) | instskip(SKIP_2) | instid1(VALU_DEP_4)
	v_fma_f32 v122, v103, v126, -v101
	v_mul_f32_e32 v101, v106, v133
	v_fmac_f32_e32 v123, v104, v126
	v_fmac_f32_e32 v127, v106, v132
	s_delay_alu instid0(VALU_DEP_3)
	v_fma_f32 v126, v105, v132, -v101
	s_clause 0x3
	global_load_b64 v[132:133], v100, s[2:3] offset:1792
	global_load_b64 v[136:137], v100, s[2:3] offset:2240
	;; [unrolled: 1-line block ×4, first 2 shown]
	ds_load_2addr_b64 v[103:106], v115 offset0:96 offset1:152
	s_wait_loadcnt_dscnt 0x300
	v_mul_f32_e32 v101, v104, v133
	v_mul_f32_e32 v143, v103, v133
	s_wait_loadcnt 0x2
	v_mul_f32_e32 v133, v105, v137
	s_delay_alu instid0(VALU_DEP_3) | instskip(SKIP_2) | instid1(VALU_DEP_4)
	v_fma_f32 v142, v103, v132, -v101
	v_mul_f32_e32 v101, v106, v137
	v_fmac_f32_e32 v143, v104, v132
	v_fmac_f32_e32 v133, v106, v136
	s_delay_alu instid0(VALU_DEP_3)
	v_fma_f32 v132, v105, v136, -v101
	s_clause 0x3
	global_load_b64 v[136:137], v100, s[2:3] offset:7392
	global_load_b64 v[144:145], v100, s[2:3] offset:7840
	;; [unrolled: 1-line block ×4, first 2 shown]
	ds_load_2addr_b64 v[103:106], v114 offset0:156 offset1:212
	s_wait_loadcnt_dscnt 0x300
	v_mul_f32_e32 v101, v104, v137
	v_mul_f32_e32 v216, v103, v137
	s_wait_loadcnt 0x2
	v_mul_f32_e32 v137, v105, v145
	s_delay_alu instid0(VALU_DEP_3) | instskip(NEXT) | instid1(VALU_DEP_3)
	v_fma_f32 v215, v103, v136, -v101
	v_dual_mul_f32 v101, v106, v145 :: v_dual_fmac_f32 v216, v104, v136
	s_delay_alu instid0(VALU_DEP_3) | instskip(NEXT) | instid1(VALU_DEP_2)
	v_fmac_f32_e32 v137, v106, v144
	v_fma_f32 v136, v105, v144, -v101
	ds_load_2addr_b64 v[103:106], v113 offset0:80 offset1:136
	s_wait_dscnt 0x0
	v_mul_f32_e32 v101, v104, v139
	v_mul_f32_e32 v145, v103, v139
	;; [unrolled: 1-line block ×3, first 2 shown]
	s_delay_alu instid0(VALU_DEP_3) | instskip(SKIP_1) | instid1(VALU_DEP_4)
	v_fma_f32 v144, v103, v138, -v101
	v_mul_f32_e32 v101, v106, v141
	v_fmac_f32_e32 v145, v104, v138
	s_delay_alu instid0(VALU_DEP_4) | instskip(NEXT) | instid1(VALU_DEP_3)
	v_fmac_f32_e32 v139, v106, v140
	v_fma_f32 v138, v105, v140, -v101
	ds_load_2addr_b64 v[103:106], v112 offset0:12 offset1:68
	s_wait_loadcnt_dscnt 0x100
	v_mul_f32_e32 v101, v104, v147
	v_mul_f32_e32 v141, v103, v147
	s_wait_loadcnt 0x0
	v_mul_f32_e32 v147, v105, v151
	s_delay_alu instid0(VALU_DEP_3) | instskip(SKIP_2) | instid1(VALU_DEP_4)
	v_fma_f32 v140, v103, v146, -v101
	v_mul_f32_e32 v101, v106, v151
	v_fmac_f32_e32 v141, v104, v146
	v_fmac_f32_e32 v147, v106, v150
	s_delay_alu instid0(VALU_DEP_3)
	v_fma_f32 v146, v105, v150, -v101
	s_clause 0x3
	global_load_b64 v[150:151], v100, s[2:3] offset:3584
	global_load_b64 v[217:218], v100, s[2:3] offset:4032
	;; [unrolled: 1-line block ×4, first 2 shown]
	ds_load_2addr_b64 v[103:106], v113 offset0:192 offset1:248
	s_wait_loadcnt_dscnt 0x300
	v_mul_f32_e32 v101, v104, v151
	s_wait_loadcnt 0x2
	v_dual_mul_f32 v222, v103, v151 :: v_dual_mul_f32 v151, v105, v218
	s_delay_alu instid0(VALU_DEP_2) | instskip(SKIP_1) | instid1(VALU_DEP_3)
	v_fma_f32 v221, v103, v150, -v101
	v_mul_f32_e32 v101, v106, v218
	v_dual_fmac_f32 v222, v104, v150 :: v_dual_fmac_f32 v151, v106, v217
	s_delay_alu instid0(VALU_DEP_2)
	v_fma_f32 v150, v105, v217, -v101
	s_clause 0x3
	global_load_b64 v[217:218], v100, s[2:3] offset:9184
	global_load_b64 v[223:224], v100, s[2:3] offset:9632
	;; [unrolled: 1-line block ×4, first 2 shown]
	ds_load_2addr_b64 v[103:106], v112 offset0:124 offset1:180
	s_wait_loadcnt_dscnt 0x300
	v_mul_f32_e32 v101, v104, v218
	v_mul_f32_e32 v230, v103, v218
	s_wait_loadcnt 0x2
	v_mul_f32_e32 v218, v105, v224
	s_delay_alu instid0(VALU_DEP_3) | instskip(NEXT) | instid1(VALU_DEP_3)
	v_fma_f32 v229, v103, v217, -v101
	v_dual_mul_f32 v101, v106, v224 :: v_dual_fmac_f32 v230, v104, v217
	s_delay_alu instid0(VALU_DEP_3) | instskip(NEXT) | instid1(VALU_DEP_2)
	v_fmac_f32_e32 v218, v106, v223
	v_fma_f32 v217, v105, v223, -v101
	ds_load_2addr_b64 v[103:106], v130 offset0:48 offset1:104
	s_wait_dscnt 0x0
	v_mul_f32_e32 v101, v104, v254
	v_mul_f32_e32 v224, v103, v254
	;; [unrolled: 1-line block ×3, first 2 shown]
	s_delay_alu instid0(VALU_DEP_3) | instskip(NEXT) | instid1(VALU_DEP_3)
	v_fma_f32 v223, v103, v253, -v101
	v_dual_mul_f32 v101, v106, v220 :: v_dual_fmac_f32 v224, v104, v253
	s_delay_alu instid0(VALU_DEP_3) | instskip(NEXT) | instid1(VALU_DEP_2)
	v_fmac_f32_e32 v254, v106, v219
	v_fma_f32 v253, v105, v219, -v101
	ds_load_2addr_b64 v[103:106], v131 offset0:108 offset1:164
	s_wait_loadcnt_dscnt 0x100
	v_mul_f32_e32 v101, v104, v226
	v_mul_f32_e32 v220, v103, v226
	s_delay_alu instid0(VALU_DEP_2) | instskip(SKIP_1) | instid1(VALU_DEP_2)
	v_fma_f32 v219, v103, v225, -v101
	s_wait_loadcnt 0x0
	v_dual_mul_f32 v101, v106, v228 :: v_dual_fmac_f32 v220, v104, v225
	v_mul_f32_e32 v104, v105, v228
	s_delay_alu instid0(VALU_DEP_2)
	v_fma_f32 v103, v105, v227, -v101
	v_add_nc_u32_e32 v101, 0x1400, v209
	ds_store_2addr_b64 v101, v[118:119], v[122:123] offset0:116 offset1:172
	ds_store_2addr_b64 v102, v[136:137], v[140:141] offset0:84 offset1:140
	v_dual_fmac_f32 v104, v106, v227 :: v_dual_add_nc_u32 v101, 0xc00, v209
	ds_store_2addr_b64 v101, v[150:151], v[223:224] offset0:120 offset1:176
	ds_store_2addr_b64 v209, v[116:117], v[124:125] offset0:56 offset1:112
	;; [unrolled: 1-line block ×9, first 2 shown]
	ds_store_b64 v209, v[103:104] offset:10528
	s_and_saveexec_b32 s1, vcc_lo
	s_cbranch_execz .LBB0_21
; %bb.20:
	s_wait_alu 0xfffe
	v_add_co_u32 v100, s2, s2, v100
	s_wait_alu 0xf1ff
	v_add_co_ci_u32_e64 v101, null, s3, 0, s2
	s_clause 0x1
	global_load_b64 v[102:103], v[100:101], off offset:5376
	global_load_b64 v[100:101], v[100:101], off offset:10976
	ds_load_b64 v[104:105], v209 offset:5376
	ds_load_b64 v[106:107], v209 offset:10976
	s_wait_loadcnt_dscnt 0x101
	v_mul_f32_e32 v116, v105, v103
	s_wait_loadcnt_dscnt 0x0
	v_dual_mul_f32 v117, v104, v103 :: v_dual_mul_f32 v118, v107, v101
	v_mul_f32_e32 v103, v106, v101
	s_delay_alu instid0(VALU_DEP_3) | instskip(NEXT) | instid1(VALU_DEP_3)
	v_fma_f32 v116, v104, v102, -v116
	v_fmac_f32_e32 v117, v105, v102
	s_delay_alu instid0(VALU_DEP_4) | instskip(NEXT) | instid1(VALU_DEP_4)
	v_fma_f32 v102, v106, v100, -v118
	v_fmac_f32_e32 v103, v107, v100
	ds_store_b64 v209, v[116:117] offset:5376
	ds_store_b64 v209, v[102:103] offset:10976
.LBB0_21:
	s_wait_alu 0xfffe
	s_or_b32 exec_lo, exec_lo, s1
	global_wb scope:SCOPE_SE
	s_wait_dscnt 0x0
	s_barrier_signal -1
	s_barrier_wait -1
	global_inv scope:SCOPE_SE
	ds_load_2addr_b64 v[132:135], v114 offset0:44 offset1:100
	ds_load_2addr_b64 v[116:119], v115 offset0:96 offset1:152
	;; [unrolled: 1-line block ×7, first 2 shown]
	v_lshlrev_b32_e32 v151, 3, v108
	v_lshlrev_b32_e32 v212, 3, v109
	;; [unrolled: 1-line block ×6, first 2 shown]
	ds_load_2addr_b64 v[140:143], v130 offset0:188 offset1:244
	ds_load_2addr_b64 v[108:111], v130 offset0:48 offset1:104
	;; [unrolled: 1-line block ×3, first 2 shown]
	ds_load_2addr_b64 v[144:147], v209 offset1:56
	ds_load_2addr_b64 v[136:139], v209 offset0:112 offset1:168
	s_and_saveexec_b32 s1, vcc_lo
	s_cbranch_execz .LBB0_23
; %bb.22:
	ds_load_b64 v[148:149], v209 offset:5376
	ds_load_b64 v[72:73], v209 offset:10976
.LBB0_23:
	s_wait_alu 0xfffe
	s_or_b32 exec_lo, exec_lo, s1
	s_wait_dscnt 0x1
	v_dual_sub_f32 v217, v144, v140 :: v_dual_sub_f32 v218, v145, v141
	global_wb scope:SCOPE_SE
	s_wait_dscnt 0x0
	s_barrier_signal -1
	s_barrier_wait -1
	v_fma_f32 v215, v144, 2.0, -v217
	global_inv scope:SCOPE_SE
	scratch_load_b32 v144, off, off offset:4 th:TH_LOAD_LU ; 4-byte Folded Reload
	v_fma_f32 v216, v145, 2.0, -v218
	v_lshlrev_b32_e32 v140, 4, v211
	v_dual_sub_f32 v142, v146, v142 :: v_dual_sub_f32 v143, v147, v143
	v_sub_f32_e32 v134, v138, v134
	v_sub_f32_e32 v126, v118, v126
	ds_store_b128 v140, v[215:218]
	v_fma_f32 v140, v146, 2.0, -v142
	v_fma_f32 v141, v147, 2.0, -v143
	v_sub_f32_e32 v122, v106, v122
	v_sub_f32_e32 v114, v102, v114
	v_dual_sub_f32 v130, v110, v130 :: v_dual_sub_f32 v135, v139, v135
	v_sub_f32_e32 v127, v119, v127
	v_sub_f32_e32 v123, v107, v123
	v_sub_f32_e32 v115, v103, v115
	v_sub_f32_e32 v131, v111, v131
	s_wait_loadcnt 0x0
	ds_store_b128 v144, v[140:143]
	v_sub_f32_e32 v142, v136, v132
	scratch_load_b32 v132, off, off offset:8 th:TH_LOAD_LU ; 4-byte Folded Reload
	v_sub_f32_e32 v143, v137, v133
	v_fma_f32 v133, v139, 2.0, -v135
	v_fma_f32 v140, v136, 2.0, -v142
	scratch_load_b32 v136, off, off offset:12 th:TH_LOAD_LU ; 4-byte Folded Reload
	v_fma_f32 v141, v137, 2.0, -v143
	s_wait_loadcnt 0x1
	ds_store_b128 v132, v[140:143]
	v_fma_f32 v132, v138, 2.0, -v134
	s_wait_loadcnt 0x0
	ds_store_b128 v136, v[132:135]
	v_dual_sub_f32 v134, v116, v124 :: v_dual_sub_f32 v135, v117, v125
	v_fma_f32 v125, v119, 2.0, -v127
	v_sub_f32_e32 v119, v105, v121
	v_fma_f32 v124, v118, 2.0, -v126
	s_delay_alu instid0(VALU_DEP_4)
	v_fma_f32 v132, v116, 2.0, -v134
	scratch_load_b32 v116, off, off offset:16 th:TH_LOAD_LU ; 4-byte Folded Reload
	v_sub_f32_e32 v118, v104, v120
	v_fma_f32 v133, v117, 2.0, -v135
	v_fma_f32 v121, v107, 2.0, -v123
	v_sub_f32_e32 v107, v101, v113
	v_fma_f32 v120, v106, 2.0, -v122
	v_sub_f32_e32 v106, v100, v112
	;; [unrolled: 2-line block ×3, first 2 shown]
	v_fma_f32 v117, v105, 2.0, -v119
	v_fma_f32 v105, v101, 2.0, -v107
	s_delay_alu instid0(VALU_DEP_3)
	v_fma_f32 v101, v149, 2.0, -v103
	s_wait_loadcnt 0x0
	ds_store_b128 v116, v[132:135]
	ds_store_b128 v151, v[124:127]
	v_sub_f32_e32 v127, v109, v129
	v_fma_f32 v112, v102, 2.0, -v114
	v_sub_f32_e32 v102, v148, v72
	v_sub_f32_e32 v126, v108, v128
	v_fma_f32 v116, v104, 2.0, -v118
	v_fma_f32 v104, v100, 2.0, -v106
	v_lshlrev_b32_e32 v72, 4, v210
	v_fma_f32 v100, v148, 2.0, -v102
	v_fma_f32 v124, v108, 2.0, -v126
	;; [unrolled: 1-line block ×5, first 2 shown]
	ds_store_b128 v212, v[116:119]
	ds_store_b128 v150, v[120:123]
	;; [unrolled: 1-line block ×6, first 2 shown]
	s_and_saveexec_b32 s1, vcc_lo
	s_cbranch_execz .LBB0_25
; %bb.24:
	scratch_load_b32 v72, off, off offset:68 th:TH_LOAD_LU ; 4-byte Folded Reload
	s_wait_loadcnt 0x0
	ds_store_b128 v72, v[100:103]
.LBB0_25:
	s_wait_alu 0xfffe
	s_or_b32 exec_lo, exec_lo, s1
	v_add_nc_u32_e32 v72, 0x1000, v209
	v_add_nc_u32_e32 v73, 0x1800, v209
	;; [unrolled: 1-line block ×5, first 2 shown]
	global_wb scope:SCOPE_SE
	s_wait_dscnt 0x0
	s_barrier_signal -1
	s_barrier_wait -1
	global_inv scope:SCOPE_SE
	ds_load_2addr_b64 v[120:123], v209 offset1:56
	ds_load_2addr_b64 v[148:151], v72 offset0:188 offset1:244
	ds_load_2addr_b64 v[112:115], v209 offset0:112 offset1:168
	;; [unrolled: 1-line block ×6, first 2 shown]
	v_add_nc_u32_e32 v73, 0x2400, v209
	ds_load_2addr_b64 v[140:143], v106 offset0:12 offset1:68
	ds_load_2addr_b64 v[116:119], v105 offset0:192 offset1:248
	;; [unrolled: 1-line block ×5, first 2 shown]
	s_and_saveexec_b32 s1, vcc_lo
	s_cbranch_execz .LBB0_27
; %bb.26:
	ds_load_b64 v[100:101], v209 offset:5376
	ds_load_b64 v[102:103], v209 offset:10976
.LBB0_27:
	s_wait_alu 0xfffe
	s_or_b32 exec_lo, exec_lo, s1
	s_wait_dscnt 0xa
	v_mul_f32_e32 v215, v204, v150
	v_mul_f32_e32 v212, v204, v151
	;; [unrolled: 1-line block ×3, first 2 shown]
	s_wait_dscnt 0x0
	v_mul_f32_e32 v217, v204, v129
	v_mul_f32_e32 v219, v204, v131
	v_fma_f32 v151, v203, v151, -v215
	v_mul_f32_e32 v215, v204, v139
	v_mul_f32_e32 v72, v204, v149
	v_fmac_f32_e32 v212, v203, v150
	v_fma_f32 v73, v203, v149, -v73
	v_dual_mul_f32 v150, v204, v147 :: v_dual_fmac_f32 v217, v203, v128
	v_mul_f32_e32 v149, v204, v144
	v_fmac_f32_e32 v215, v203, v138
	v_fmac_f32_e32 v72, v203, v148
	s_delay_alu instid0(VALU_DEP_4)
	v_fmac_f32_e32 v150, v203, v146
	v_mul_f32_e32 v148, v204, v145
	v_mul_f32_e32 v221, v204, v103
	v_dual_fmac_f32 v219, v203, v130 :: v_dual_mul_f32 v216, v204, v133
	global_wb scope:SCOPE_SE
	v_fmac_f32_e32 v148, v203, v144
	v_fma_f32 v144, v203, v145, -v149
	v_mul_f32_e32 v145, v204, v146
	v_mul_f32_e32 v146, v204, v137
	;; [unrolled: 1-line block ×3, first 2 shown]
	v_fmac_f32_e32 v221, v203, v102
	s_barrier_signal -1
	v_fma_f32 v145, v203, v147, -v145
	v_mul_f32_e32 v147, v204, v138
	v_mul_f32_e32 v138, v204, v141
	v_fmac_f32_e32 v146, v203, v136
	v_fma_f32 v136, v203, v137, -v149
	v_mul_f32_e32 v149, v204, v142
	s_barrier_wait -1
	v_fmac_f32_e32 v138, v203, v140
	v_fma_f32 v137, v203, v139, -v147
	v_mul_f32_e32 v139, v204, v140
	v_mul_f32_e32 v140, v204, v132
	;; [unrolled: 1-line block ×3, first 2 shown]
	global_inv scope:SCOPE_SE
	v_sub_f32_e32 v137, v127, v137
	v_fma_f32 v139, v203, v141, -v139
	v_fma_f32 v141, v203, v143, -v149
	v_mul_f32_e32 v149, v204, v135
	v_fma_f32 v143, v203, v133, -v140
	v_fma_f32 v127, v127, 2.0, -v137
	s_delay_alu instid0(VALU_DEP_4) | instskip(NEXT) | instid1(VALU_DEP_4)
	v_dual_sub_f32 v138, v108, v138 :: v_dual_sub_f32 v141, v111, v141
	v_fmac_f32_e32 v149, v203, v134
	v_mul_f32_e32 v133, v204, v128
	v_dual_sub_f32 v128, v120, v72 :: v_dual_sub_f32 v139, v109, v139
	s_delay_alu instid0(VALU_DEP_4) | instskip(SKIP_1) | instid1(VALU_DEP_4)
	v_fma_f32 v108, v108, 2.0, -v138
	v_fma_f32 v111, v111, 2.0, -v141
	v_fma_f32 v220, v203, v129, -v133
	v_mul_f32_e32 v129, v204, v130
	v_dual_sub_f32 v133, v115, v145 :: v_dual_sub_f32 v130, v122, v212
	v_fma_f32 v109, v109, 2.0, -v139
	v_sub_f32_e32 v143, v117, v143
	s_delay_alu instid0(VALU_DEP_4) | instskip(SKIP_3) | instid1(VALU_DEP_4)
	v_fma_f32 v72, v203, v131, -v129
	v_sub_f32_e32 v131, v123, v151
	v_fmac_f32_e32 v216, v203, v132
	v_fmac_f32_e32 v147, v203, v142
	v_dual_mul_f32 v132, v204, v134 :: v_dual_sub_f32 v151, v107, v72
	v_sub_f32_e32 v72, v100, v221
	s_delay_alu instid0(VALU_DEP_3) | instskip(SKIP_1) | instid1(VALU_DEP_4)
	v_dual_sub_f32 v129, v121, v73 :: v_dual_sub_f32 v140, v110, v147
	v_sub_f32_e32 v147, v105, v220
	v_fma_f32 v218, v203, v135, -v132
	v_mul_f32_e32 v132, v204, v102
	v_fma_f32 v102, v120, 2.0, -v128
	v_sub_f32_e32 v120, v112, v148
	v_fma_f32 v148, v100, 2.0, -v72
	scratch_load_b32 v100, off, off offset:64 th:TH_LOAD_LU ; 4-byte Folded Reload
	v_fma_f32 v203, v203, v103, -v132
	v_fma_f32 v103, v121, 2.0, -v129
	v_fma_f32 v122, v122, 2.0, -v130
	;; [unrolled: 1-line block ×3, first 2 shown]
	v_sub_f32_e32 v121, v113, v144
	v_fma_f32 v112, v112, 2.0, -v120
	v_sub_f32_e32 v132, v114, v150
	v_fma_f32 v115, v115, 2.0, -v133
	v_dual_sub_f32 v134, v124, v146 :: v_dual_sub_f32 v135, v125, v136
	v_fma_f32 v113, v113, 2.0, -v121
	s_delay_alu instid0(VALU_DEP_4) | instskip(SKIP_1) | instid1(VALU_DEP_4)
	v_fma_f32 v114, v114, 2.0, -v132
	v_sub_f32_e32 v136, v126, v215
	v_fma_f32 v124, v124, 2.0, -v134
	v_fma_f32 v125, v125, 2.0, -v135
	;; [unrolled: 1-line block ×3, first 2 shown]
	v_sub_f32_e32 v142, v116, v216
	v_fma_f32 v126, v126, 2.0, -v136
	v_fma_f32 v117, v117, 2.0, -v143
	v_dual_sub_f32 v144, v118, v149 :: v_dual_sub_f32 v145, v119, v218
	v_sub_f32_e32 v146, v104, v217
	v_fma_f32 v116, v116, 2.0, -v142
	v_fma_f32 v105, v105, 2.0, -v147
	s_delay_alu instid0(VALU_DEP_4)
	v_fma_f32 v118, v118, 2.0, -v144
	v_fma_f32 v119, v119, 2.0, -v145
	;; [unrolled: 1-line block ×3, first 2 shown]
	v_sub_f32_e32 v150, v106, v219
	v_sub_f32_e32 v73, v101, v203
	v_fma_f32 v107, v107, 2.0, -v151
	s_delay_alu instid0(VALU_DEP_3) | instskip(NEXT) | instid1(VALU_DEP_3)
	v_fma_f32 v106, v106, 2.0, -v150
	v_fma_f32 v149, v101, 2.0, -v73
	s_wait_loadcnt 0x0
	ds_store_2addr_b64 v100, v[102:103], v[128:129] offset1:2
	scratch_load_b32 v100, off, off offset:60 th:TH_LOAD_LU ; 4-byte Folded Reload
	s_wait_loadcnt 0x0
	ds_store_2addr_b64 v100, v[122:123], v[130:131] offset1:2
	scratch_load_b32 v100, off, off offset:56 th:TH_LOAD_LU ; 4-byte Folded Reload
	;; [unrolled: 3-line block ×11, first 2 shown]
	s_wait_loadcnt 0x0
	ds_store_2addr_b64 v100, v[106:107], v[150:151] offset1:2
	s_and_saveexec_b32 s1, vcc_lo
	s_cbranch_execz .LBB0_29
; %bb.28:
	scratch_load_b32 v100, off, off         ; 4-byte Folded Reload
	s_wait_loadcnt 0x0
	v_and_or_b32 v100, 0x57c, v100, v213
	s_delay_alu instid0(VALU_DEP_1)
	v_lshlrev_b32_e32 v100, 3, v100
	ds_store_2addr_b64 v100, v[148:149], v[72:73] offset1:2
.LBB0_29:
	s_wait_alu 0xfffe
	s_or_b32 exec_lo, exec_lo, s1
	v_add_nc_u32_e32 v104, 0x1000, v209
	v_add_nc_u32_e32 v100, 0x1800, v209
	;; [unrolled: 1-line block ×6, first 2 shown]
	global_wb scope:SCOPE_SE
	s_wait_dscnt 0x0
	s_barrier_signal -1
	s_barrier_wait -1
	global_inv scope:SCOPE_SE
	ds_load_2addr_b64 v[112:115], v209 offset1:56
	ds_load_2addr_b64 v[144:147], v104 offset0:188 offset1:244
	ds_load_2addr_b64 v[116:119], v209 offset0:112 offset1:168
	;; [unrolled: 1-line block ×11, first 2 shown]
	s_and_saveexec_b32 s1, vcc_lo
	s_cbranch_execz .LBB0_31
; %bb.30:
	ds_load_b64 v[148:149], v209 offset:5376
	ds_load_b64 v[72:73], v209 offset:10976
.LBB0_31:
	s_wait_alu 0xfffe
	s_or_b32 exec_lo, exec_lo, s1
	s_wait_dscnt 0xa
	v_mul_f32_e32 v203, v206, v147
	v_mul_f32_e32 v150, v206, v145
	;; [unrolled: 1-line block ×3, first 2 shown]
	s_wait_dscnt 0x8
	v_mul_f32_e32 v212, v206, v141
	global_wb scope:SCOPE_SE
	s_wait_dscnt 0x0
	v_fmac_f32_e32 v203, v205, v146
	v_dual_fmac_f32 v150, v205, v144 :: v_dual_mul_f32 v213, v206, v131
	v_mul_f32_e32 v146, v206, v140
	v_fmac_f32_e32 v212, v205, v140
	v_mul_f32_e32 v140, v206, v143
	v_mul_f32_e32 v151, v206, v144
	v_fmac_f32_e32 v213, v205, v130
	v_fma_f32 v141, v205, v141, -v146
	v_mul_f32_e32 v146, v206, v132
	v_fmac_f32_e32 v140, v205, v142
	v_fma_f32 v144, v205, v145, -v151
	v_mul_f32_e32 v151, v206, v133
	s_barrier_signal -1
	v_fma_f32 v133, v205, v133, -v146
	v_mul_f32_e32 v146, v206, v137
	s_barrier_wait -1
	global_inv scope:SCOPE_SE
	v_sub_f32_e32 v133, v121, v133
	v_fmac_f32_e32 v146, v205, v136
	v_fmac_f32_e32 v151, v205, v132
	v_fma_f32 v145, v205, v147, -v204
	v_mul_f32_e32 v147, v206, v142
	v_mul_f32_e32 v219, v206, v73
	;; [unrolled: 1-line block ×4, first 2 shown]
	v_fma_f32 v121, v121, 2.0, -v133
	v_fma_f32 v142, v205, v143, -v147
	v_mul_f32_e32 v143, v206, v135
	v_fmac_f32_e32 v219, v205, v72
	v_fmac_f32_e32 v204, v205, v138
	v_fma_f32 v135, v205, v135, -v132
	v_mul_f32_e32 v132, v206, v138
	v_dual_fmac_f32 v143, v205, v134 :: v_dual_mul_f32 v134, v206, v128
	s_delay_alu instid0(VALU_DEP_3) | instskip(NEXT) | instid1(VALU_DEP_3)
	v_sub_f32_e32 v135, v123, v135
	v_fma_f32 v139, v205, v139, -v132
	v_mul_f32_e32 v132, v206, v130
	v_mul_f32_e32 v216, v206, v125
	s_delay_alu instid0(VALU_DEP_4) | instskip(NEXT) | instid1(VALU_DEP_4)
	v_fma_f32 v123, v123, 2.0, -v135
	v_sub_f32_e32 v139, v103, v139
	s_delay_alu instid0(VALU_DEP_4) | instskip(SKIP_2) | instid1(VALU_DEP_3)
	v_fma_f32 v217, v205, v131, -v132
	v_dual_mul_f32 v218, v206, v127 :: v_dual_sub_f32 v131, v119, v142
	v_fma_f32 v215, v205, v129, -v134
	v_dual_sub_f32 v134, v122, v143 :: v_dual_sub_f32 v143, v111, v217
	s_delay_alu instid0(VALU_DEP_3) | instskip(SKIP_3) | instid1(VALU_DEP_4)
	v_dual_mul_f32 v147, v206, v136 :: v_dual_fmac_f32 v218, v205, v126
	v_fmac_f32_e32 v216, v205, v124
	v_sub_f32_e32 v136, v100, v146
	v_sub_f32_e32 v130, v118, v140
	v_fma_f32 v137, v205, v137, -v147
	v_mul_f32_e32 v147, v206, v129
	v_dual_mul_f32 v129, v206, v126 :: v_dual_sub_f32 v132, v120, v151
	v_sub_f32_e32 v142, v110, v213
	s_delay_alu instid0(VALU_DEP_4) | instskip(NEXT) | instid1(VALU_DEP_4)
	v_sub_f32_e32 v137, v101, v137
	v_fmac_f32_e32 v147, v205, v128
	v_mul_f32_e32 v128, v206, v124
	v_sub_f32_e32 v124, v112, v150
	v_sub_f32_e32 v146, v106, v218
	v_fma_f32 v119, v119, 2.0, -v131
	v_sub_f32_e32 v140, v108, v147
	v_fma_f32 v220, v205, v125, -v128
	v_sub_f32_e32 v128, v116, v212
	v_fma_f32 v221, v205, v127, -v129
	v_mul_f32_e32 v127, v206, v72
	v_dual_sub_f32 v125, v113, v144 :: v_dual_sub_f32 v126, v114, v203
	v_sub_f32_e32 v129, v117, v141
	v_fma_f32 v112, v112, 2.0, -v124
	s_delay_alu instid0(VALU_DEP_4) | instskip(SKIP_3) | instid1(VALU_DEP_4)
	v_fma_f32 v73, v205, v73, -v127
	v_sub_f32_e32 v127, v115, v145
	v_sub_f32_e32 v145, v105, v220
	v_fma_f32 v113, v113, 2.0, -v125
	v_dual_sub_f32 v138, v102, v204 :: v_dual_sub_f32 v73, v149, v73
	v_dual_sub_f32 v141, v109, v215 :: v_dual_sub_f32 v144, v104, v216
	;; [unrolled: 1-line block ×3, first 2 shown]
	v_fma_f32 v114, v114, 2.0, -v126
	v_fma_f32 v115, v115, 2.0, -v127
	;; [unrolled: 1-line block ×19, first 2 shown]
	ds_store_2addr_b64 v244, v[112:113], v[124:125] offset1:4
	ds_store_2addr_b64 v243, v[114:115], v[126:127] offset1:4
	;; [unrolled: 1-line block ×12, first 2 shown]
	s_and_saveexec_b32 s1, vcc_lo
	s_cbranch_execz .LBB0_33
; %bb.32:
	scratch_load_b32 v100, off, off th:TH_LOAD_LU ; 4-byte Folded Reload
	v_fma_f32 v101, v149, 2.0, -v73
	s_wait_loadcnt 0x0
	v_and_or_b32 v102, 0x578, v100, v214
	v_fma_f32 v100, v148, 2.0, -v72
	s_delay_alu instid0(VALU_DEP_2)
	v_lshlrev_b32_e32 v102, 3, v102
	ds_store_2addr_b64 v102, v[100:101], v[72:73] offset1:4
.LBB0_33:
	s_wait_alu 0xfffe
	s_or_b32 exec_lo, exec_lo, s1
	v_add_nc_u32_e32 v142, 0x400, v209
	v_add_nc_u32_e32 v116, 0x1000, v209
	;; [unrolled: 1-line block ×3, first 2 shown]
	global_wb scope:SCOPE_SE
	s_wait_dscnt 0x0
	s_barrier_signal -1
	s_barrier_wait -1
	global_inv scope:SCOPE_SE
	ds_load_2addr_b64 v[100:103], v142 offset0:96 offset1:152
	ds_load_2addr_b64 v[112:115], v116 offset0:48 offset1:104
	;; [unrolled: 1-line block ×3, first 2 shown]
	ds_load_2addr_b64 v[108:111], v209 offset1:56
	v_add_nc_u32_e32 v117, 0x2000, v209
	v_add_nc_u32_e32 v119, 0x800, v209
	;; [unrolled: 1-line block ×3, first 2 shown]
	ds_load_2addr_b64 v[104:107], v209 offset0:112 offset1:168
	s_wait_dscnt 0x4
	v_dual_mul_f32 v212, v5, v102 :: v_dual_add_nc_u32 v151, 0x1c00, v209
	s_wait_dscnt 0x2
	v_dual_mul_f32 v214, v7, v112 :: v_dual_mul_f32 v215, v1, v127
	v_mul_f32_e32 v216, v1, v126
	ds_load_2addr_b64 v[120:123], v117 offset0:96 offset1:152
	ds_load_b64 v[140:141], v209 offset:10752
	ds_load_2addr_b64 v[128:131], v119 offset0:80 offset1:136
	ds_load_2addr_b64 v[132:135], v118 offset0:128 offset1:184
	;; [unrolled: 1-line block ×6, first 2 shown]
	v_mul_f32_e32 v151, v5, v103
	v_mul_f32_e32 v213, v7, v113
	v_fmac_f32_e32 v215, v0, v126
	v_fma_f32 v127, v0, v127, -v216
	global_wb scope:SCOPE_SE
	s_wait_dscnt 0x0
	v_fmac_f32_e32 v151, v4, v102
	v_fma_f32 v102, v4, v103, -v212
	v_fma_f32 v103, v6, v113, -v214
	v_mul_f32_e32 v214, v7, v115
	s_barrier_signal -1
	s_barrier_wait -1
	global_inv scope:SCOPE_SE
	v_dual_mul_f32 v219, v3, v123 :: v_dual_fmac_f32 v214, v6, v114
	v_mul_f32_e32 v212, v5, v129
	v_dual_mul_f32 v113, v3, v121 :: v_dual_mul_f32 v126, v5, v128
	v_fmac_f32_e32 v213, v6, v112
	v_mul_f32_e32 v112, v3, v120
	s_delay_alu instid0(VALU_DEP_4) | instskip(NEXT) | instid1(VALU_DEP_4)
	v_fmac_f32_e32 v212, v4, v128
	v_dual_fmac_f32 v113, v2, v120 :: v_dual_mul_f32 v120, v3, v122
	v_mul_f32_e32 v223, v5, v131
	s_delay_alu instid0(VALU_DEP_4)
	v_fma_f32 v216, v2, v121, -v112
	v_mul_f32_e32 v112, v7, v114
	v_mul_f32_e32 v114, v1, v132
	;; [unrolled: 1-line block ×3, first 2 shown]
	v_dual_fmac_f32 v223, v4, v130 :: v_dual_mul_f32 v218, v1, v133
	v_fmac_f32_e32 v219, v2, v122
	s_delay_alu instid0(VALU_DEP_4) | instskip(SKIP_4) | instid1(VALU_DEP_4)
	v_fma_f32 v221, v0, v133, -v114
	v_mul_f32_e32 v114, v7, v136
	v_fma_f32 v220, v6, v115, -v112
	v_mul_f32_e32 v115, v5, v147
	v_dual_mul_f32 v112, v5, v130 :: v_dual_fmac_f32 v229, v4, v147
	v_fma_f32 v227, v6, v137, -v114
	v_mul_f32_e32 v114, v3, v143
	v_fma_f32 v222, v2, v123, -v120
	s_delay_alu instid0(VALU_DEP_4)
	v_fma_f32 v226, v4, v131, -v112
	v_mul_f32_e32 v112, v1, v134
	v_dual_mul_f32 v228, v3, v144 :: v_dual_mul_f32 v123, v5, v150
	v_dual_mul_f32 v234, v7, v139 :: v_dual_mul_f32 v5, v5, v149
	v_fma_f32 v217, v4, v129, -v126
	v_dual_fmac_f32 v218, v0, v132 :: v_dual_mul_f32 v225, v1, v135
	v_mul_f32_e32 v224, v7, v137
	v_fma_f32 v230, v0, v135, -v112
	v_fma_f32 v231, v2, v144, -v114
	v_fma_f32 v233, v4, v148, -v115
	v_fmac_f32_e32 v225, v0, v134
	v_dual_mul_f32 v112, v7, v138 :: v_dual_fmac_f32 v123, v4, v149
	v_dual_mul_f32 v114, v1, v203 :: v_dual_mul_f32 v239, v3, v141
	v_mul_f32_e32 v122, v7, v125
	v_mul_f32_e32 v7, v7, v124
	v_fma_f32 v120, v4, v150, -v5
	s_delay_alu instid0(VALU_DEP_4)
	v_dual_add_f32 v4, v213, v215 :: v_dual_fmac_f32 v239, v2, v140
	v_dual_fmac_f32 v228, v2, v143 :: v_dual_mul_f32 v235, v1, v204
	v_mul_f32_e32 v148, v3, v146
	v_dual_fmac_f32 v234, v6, v138 :: v_dual_add_f32 v5, v108, v151
	v_fma_f32 v236, v6, v139, -v112
	v_mul_f32_e32 v112, v3, v145
	v_fma_f32 v121, v6, v125, -v7
	v_mul_f32_e32 v125, v1, v206
	v_mul_f32_e32 v1, v1, v205
	v_fma_f32 v4, -0.5, v4, v108
	v_sub_f32_e32 v7, v102, v216
	v_dual_fmac_f32 v224, v6, v136 :: v_dual_fmac_f32 v235, v0, v203
	v_fma_f32 v237, v0, v204, -v114
	v_fmac_f32_e32 v148, v2, v145
	v_fma_f32 v238, v2, v146, -v112
	v_dual_fmac_f32 v122, v6, v124 :: v_dual_fmac_f32 v125, v0, v205
	v_fma_f32 v124, v0, v206, -v1
	v_dual_add_f32 v0, v5, v213 :: v_dual_mul_f32 v3, v3, v140
	v_sub_f32_e32 v1, v103, v127
	v_dual_sub_f32 v5, v151, v213 :: v_dual_sub_f32 v112, v113, v215
	v_fmamk_f32 v6, v7, 0xbf737871, v4
	v_add_f32_e32 v114, v151, v113
	v_fma_f32 v126, v2, v141, -v3
	v_add_f32_e32 v3, v109, v102
	s_delay_alu instid0(VALU_DEP_4)
	v_dual_add_f32 v115, v5, v112 :: v_dual_fmac_f32 v6, 0xbf167918, v1
	v_add_f32_e32 v5, v103, v127
	v_fma_f32 v108, -0.5, v114, v108
	v_fmac_f32_e32 v4, 0x3f737871, v7
	v_sub_f32_e32 v128, v213, v215
	v_sub_f32_e32 v129, v216, v127
	v_fma_f32 v5, -0.5, v5, v109
	v_add_f32_e32 v0, v0, v215
	v_fmamk_f32 v112, v1, 0x3f737871, v108
	v_fmac_f32_e32 v4, 0x3f167918, v1
	v_dual_fmac_f32 v108, 0xbf737871, v1 :: v_dual_add_f32 v1, v3, v103
	s_delay_alu instid0(VALU_DEP_4) | instskip(SKIP_2) | instid1(VALU_DEP_4)
	v_add_f32_e32 v114, v0, v113
	v_sub_f32_e32 v0, v213, v151
	v_dual_sub_f32 v2, v215, v113 :: v_dual_add_f32 v3, v102, v216
	v_add_f32_e32 v1, v1, v127
	v_fmac_f32_e32 v6, 0x3e9e377a, v115
	v_fmac_f32_e32 v4, 0x3e9e377a, v115
	s_delay_alu instid0(VALU_DEP_4)
	v_add_f32_e32 v0, v0, v2
	v_fma_f32 v109, -0.5, v3, v109
	v_sub_f32_e32 v3, v127, v216
	v_sub_f32_e32 v2, v151, v113
	v_fmac_f32_e32 v108, 0x3f167918, v7
	v_sub_f32_e32 v113, v102, v103
	v_dual_fmac_f32 v112, 0xbf167918, v7 :: v_dual_add_f32 v115, v1, v216
	v_sub_f32_e32 v1, v103, v102
	v_dual_sub_f32 v103, v212, v214 :: v_dual_sub_f32 v134, v222, v221
	s_delay_alu instid0(VALU_DEP_3) | instskip(NEXT) | instid1(VALU_DEP_3)
	v_fmac_f32_e32 v112, 0x3e9e377a, v0
	v_dual_sub_f32 v136, v228, v225 :: v_dual_add_f32 v1, v1, v3
	v_fmac_f32_e32 v108, 0x3e9e377a, v0
	v_dual_add_f32 v3, v110, v212 :: v_dual_add_f32 v0, v113, v129
	v_fmamk_f32 v113, v128, 0xbf737871, v109
	v_fmamk_f32 v7, v2, 0x3f737871, v5
	v_fmac_f32_e32 v5, 0xbf737871, v2
	v_dual_fmac_f32 v109, 0x3f737871, v128 :: v_dual_add_f32 v130, v212, v219
	s_delay_alu instid0(VALU_DEP_4) | instskip(NEXT) | instid1(VALU_DEP_4)
	v_fmac_f32_e32 v113, 0x3f167918, v2
	v_fmac_f32_e32 v7, 0x3f167918, v128
	s_delay_alu instid0(VALU_DEP_4) | instskip(NEXT) | instid1(VALU_DEP_4)
	v_fmac_f32_e32 v5, 0xbf167918, v128
	v_fmac_f32_e32 v109, 0xbf167918, v2
	v_add_f32_e32 v102, v214, v218
	s_delay_alu instid0(VALU_DEP_4) | instskip(NEXT) | instid1(VALU_DEP_4)
	v_dual_sub_f32 v128, v219, v218 :: v_dual_fmac_f32 v7, 0x3e9e377a, v0
	v_fmac_f32_e32 v5, 0x3e9e377a, v0
	v_fmac_f32_e32 v113, 0x3e9e377a, v1
	s_delay_alu instid0(VALU_DEP_4) | instskip(SKIP_4) | instid1(VALU_DEP_3)
	v_fma_f32 v127, -0.5, v102, v110
	v_sub_f32_e32 v102, v217, v222
	v_dual_add_f32 v0, v3, v214 :: v_dual_sub_f32 v3, v220, v221
	v_fma_f32 v110, -0.5, v130, v110
	v_fmac_f32_e32 v109, 0x3e9e377a, v1
	v_dual_fmamk_f32 v129, v102, 0xbf737871, v127 :: v_dual_add_f32 v0, v0, v218
	v_fmac_f32_e32 v127, 0x3f737871, v102
	s_delay_alu instid0(VALU_DEP_4) | instskip(SKIP_1) | instid1(VALU_DEP_4)
	v_fmamk_f32 v133, v3, 0x3f737871, v110
	v_fmac_f32_e32 v110, 0xbf737871, v3
	v_fmac_f32_e32 v129, 0xbf167918, v3
	v_dual_add_f32 v131, v0, v219 :: v_dual_sub_f32 v0, v214, v212
	v_add_f32_e32 v2, v103, v128
	v_dual_add_f32 v128, v220, v221 :: v_dual_fmac_f32 v127, 0x3f167918, v3
	v_dual_sub_f32 v3, v212, v219 :: v_dual_fmac_f32 v110, 0x3f167918, v102
	v_sub_f32_e32 v141, v231, v230
	s_delay_alu instid0(VALU_DEP_3) | instskip(SKIP_2) | instid1(VALU_DEP_3)
	v_fma_f32 v128, -0.5, v128, v111
	v_sub_f32_e32 v1, v218, v219
	v_dual_fmac_f32 v127, 0x3e9e377a, v2 :: v_dual_add_f32 v146, v229, v148
	v_fmamk_f32 v130, v3, 0x3f737871, v128
	s_delay_alu instid0(VALU_DEP_3) | instskip(SKIP_3) | instid1(VALU_DEP_4)
	v_dual_fmac_f32 v129, 0x3e9e377a, v2 :: v_dual_add_f32 v0, v0, v1
	v_dual_add_f32 v103, v111, v217 :: v_dual_add_f32 v2, v217, v222
	v_fmac_f32_e32 v133, 0xbf167918, v102
	v_sub_f32_e32 v102, v214, v218
	v_fmac_f32_e32 v110, 0x3e9e377a, v0
	s_delay_alu instid0(VALU_DEP_2) | instskip(NEXT) | instid1(VALU_DEP_1)
	v_dual_add_f32 v1, v103, v220 :: v_dual_fmac_f32 v130, 0x3f167918, v102
	v_add_f32_e32 v1, v1, v221
	s_delay_alu instid0(VALU_DEP_1) | instskip(SKIP_3) | instid1(VALU_DEP_3)
	v_add_f32_e32 v132, v1, v222
	v_dual_sub_f32 v103, v217, v220 :: v_dual_fmac_f32 v128, 0xbf737871, v3
	v_fmac_f32_e32 v111, -0.5, v2
	v_fmac_f32_e32 v133, 0x3e9e377a, v0
	v_dual_sub_f32 v1, v220, v217 :: v_dual_add_f32 v0, v103, v134
	v_dual_sub_f32 v2, v221, v222 :: v_dual_add_f32 v103, v224, v225
	s_delay_alu instid0(VALU_DEP_4) | instskip(SKIP_1) | instid1(VALU_DEP_3)
	v_fmamk_f32 v134, v102, 0xbf737871, v111
	v_fmac_f32_e32 v128, 0xbf167918, v102
	v_dual_fmac_f32 v130, 0x3e9e377a, v0 :: v_dual_add_f32 v1, v1, v2
	v_add_f32_e32 v2, v104, v223
	s_delay_alu instid0(VALU_DEP_4) | instskip(SKIP_3) | instid1(VALU_DEP_3)
	v_fmac_f32_e32 v134, 0x3f167918, v3
	v_fmac_f32_e32 v111, 0x3f737871, v102
	v_fma_f32 v135, -0.5, v103, v104
	v_dual_sub_f32 v103, v226, v231 :: v_dual_sub_f32 v102, v223, v224
	v_fmac_f32_e32 v111, 0xbf167918, v3
	v_fmac_f32_e32 v128, 0x3e9e377a, v0
	s_delay_alu instid0(VALU_DEP_3) | instskip(SKIP_2) | instid1(VALU_DEP_3)
	v_dual_add_f32 v0, v2, v224 :: v_dual_fmamk_f32 v137, v103, 0xbf737871, v135
	v_fmac_f32_e32 v135, 0x3f737871, v103
	v_dual_fmac_f32 v134, 0x3e9e377a, v1 :: v_dual_add_f32 v3, v102, v136
	v_add_f32_e32 v0, v0, v225
	v_dual_sub_f32 v2, v227, v230 :: v_dual_fmac_f32 v111, 0x3e9e377a, v1
	v_dual_sub_f32 v1, v225, v228 :: v_dual_add_f32 v136, v227, v230
	s_delay_alu instid0(VALU_DEP_3) | instskip(NEXT) | instid1(VALU_DEP_3)
	v_add_f32_e32 v139, v0, v228
	v_dual_add_f32 v138, v223, v228 :: v_dual_fmac_f32 v137, 0xbf167918, v2
	v_sub_f32_e32 v0, v224, v223
	v_add_f32_e32 v102, v105, v226
	v_fmac_f32_e32 v135, 0x3f167918, v2
	s_delay_alu instid0(VALU_DEP_4) | instskip(NEXT) | instid1(VALU_DEP_4)
	v_fma_f32 v104, -0.5, v138, v104
	v_dual_fmac_f32 v137, 0x3e9e377a, v3 :: v_dual_add_f32 v0, v0, v1
	s_delay_alu instid0(VALU_DEP_4) | instskip(SKIP_1) | instid1(VALU_DEP_4)
	v_add_f32_e32 v1, v102, v227
	v_fma_f32 v136, -0.5, v136, v105
	v_fmamk_f32 v143, v2, 0x3f737871, v104
	v_fmac_f32_e32 v104, 0xbf737871, v2
	v_dual_sub_f32 v2, v223, v228 :: v_dual_fmac_f32 v135, 0x3e9e377a, v3
	s_delay_alu instid0(VALU_DEP_3) | instskip(NEXT) | instid1(VALU_DEP_3)
	v_dual_sub_f32 v102, v224, v225 :: v_dual_fmac_f32 v143, 0xbf167918, v103
	v_dual_fmac_f32 v104, 0x3f167918, v103 :: v_dual_add_f32 v1, v1, v230
	v_add_f32_e32 v3, v226, v231
	s_delay_alu instid0(VALU_DEP_4) | instskip(NEXT) | instid1(VALU_DEP_3)
	v_fmamk_f32 v138, v2, 0x3f737871, v136
	v_dual_sub_f32 v103, v226, v227 :: v_dual_fmac_f32 v104, 0x3e9e377a, v0
	s_delay_alu instid0(VALU_DEP_4) | instskip(NEXT) | instid1(VALU_DEP_4)
	v_dual_fmac_f32 v143, 0x3e9e377a, v0 :: v_dual_add_f32 v140, v1, v231
	v_fma_f32 v105, -0.5, v3, v105
	s_delay_alu instid0(VALU_DEP_4) | instskip(NEXT) | instid1(VALU_DEP_4)
	v_fmac_f32_e32 v138, 0x3f167918, v102
	v_dual_add_f32 v0, v103, v141 :: v_dual_sub_f32 v3, v230, v231
	v_dual_fmac_f32 v136, 0xbf737871, v2 :: v_dual_add_f32 v103, v234, v235
	s_delay_alu instid0(VALU_DEP_4) | instskip(NEXT) | instid1(VALU_DEP_3)
	v_dual_fmamk_f32 v144, v102, 0xbf737871, v105 :: v_dual_sub_f32 v1, v227, v226
	v_fmac_f32_e32 v138, 0x3e9e377a, v0
	s_delay_alu instid0(VALU_DEP_3) | instskip(NEXT) | instid1(VALU_DEP_4)
	v_fmac_f32_e32 v136, 0xbf167918, v102
	v_fma_f32 v145, -0.5, v103, v106
	s_delay_alu instid0(VALU_DEP_4) | instskip(SKIP_1) | instid1(VALU_DEP_4)
	v_dual_fmac_f32 v144, 0x3f167918, v2 :: v_dual_add_f32 v1, v1, v3
	v_add_f32_e32 v3, v106, v229
	v_dual_sub_f32 v103, v233, v238 :: v_dual_fmac_f32 v136, 0x3e9e377a, v0
	v_fmac_f32_e32 v105, 0x3f737871, v102
	v_dual_sub_f32 v102, v229, v234 :: v_dual_sub_f32 v141, v148, v235
	s_delay_alu instid0(VALU_DEP_3) | instskip(SKIP_4) | instid1(VALU_DEP_4)
	v_fmamk_f32 v147, v103, 0xbf737871, v145
	v_dual_add_f32 v0, v3, v234 :: v_dual_sub_f32 v3, v236, v237
	v_fmac_f32_e32 v144, 0x3e9e377a, v1
	v_fma_f32 v106, -0.5, v146, v106
	v_fmac_f32_e32 v145, 0x3f737871, v103
	v_fmac_f32_e32 v147, 0xbf167918, v3
	v_dual_fmac_f32 v105, 0xbf167918, v2 :: v_dual_add_f32 v0, v0, v235
	v_add_f32_e32 v2, v102, v141
	v_add_f32_e32 v102, v107, v233
	s_delay_alu instid0(VALU_DEP_3) | instskip(NEXT) | instid1(VALU_DEP_4)
	v_fmac_f32_e32 v105, 0x3e9e377a, v1
	v_add_f32_e32 v149, v0, v148
	s_delay_alu instid0(VALU_DEP_4) | instskip(SKIP_3) | instid1(VALU_DEP_3)
	v_dual_fmac_f32 v147, 0x3e9e377a, v2 :: v_dual_sub_f32 v0, v234, v229
	v_sub_f32_e32 v1, v235, v148
	v_fmamk_f32 v203, v3, 0x3f737871, v106
	v_dual_fmac_f32 v106, 0xbf737871, v3 :: v_dual_add_f32 v141, v236, v237
	v_add_f32_e32 v0, v0, v1
	s_delay_alu instid0(VALU_DEP_2) | instskip(NEXT) | instid1(VALU_DEP_3)
	v_fmac_f32_e32 v106, 0x3f167918, v103
	v_fma_f32 v146, -0.5, v141, v107
	v_add_f32_e32 v1, v102, v236
	v_sub_f32_e32 v102, v234, v235
	s_delay_alu instid0(VALU_DEP_2) | instskip(SKIP_2) | instid1(VALU_DEP_1)
	v_dual_fmac_f32 v106, 0x3e9e377a, v0 :: v_dual_add_f32 v1, v1, v237
	v_fmac_f32_e32 v145, 0x3f167918, v3
	v_sub_f32_e32 v3, v229, v148
	v_fmamk_f32 v148, v3, 0x3f737871, v146
	v_fmac_f32_e32 v146, 0xbf737871, v3
	s_delay_alu instid0(VALU_DEP_2)
	v_fmac_f32_e32 v148, 0x3f167918, v102
	v_add_f32_e32 v150, v1, v238
	v_fmac_f32_e32 v145, 0x3e9e377a, v2
	v_dual_add_f32 v2, v233, v238 :: v_dual_sub_f32 v141, v238, v237
	v_fmac_f32_e32 v203, 0xbf167918, v103
	v_sub_f32_e32 v103, v233, v236
	v_sub_f32_e32 v1, v236, v233
	s_delay_alu instid0(VALU_DEP_4) | instskip(NEXT) | instid1(VALU_DEP_4)
	v_fmac_f32_e32 v107, -0.5, v2
	v_dual_sub_f32 v2, v237, v238 :: v_dual_fmac_f32 v203, 0x3e9e377a, v0
	s_delay_alu instid0(VALU_DEP_4) | instskip(SKIP_1) | instid1(VALU_DEP_3)
	v_add_f32_e32 v0, v103, v141
	v_dual_fmac_f32 v146, 0xbf167918, v102 :: v_dual_add_f32 v103, v122, v125
	v_dual_fmamk_f32 v204, v102, 0xbf737871, v107 :: v_dual_add_f32 v1, v1, v2
	v_add_f32_e32 v2, v100, v123
	s_delay_alu instid0(VALU_DEP_3) | instskip(NEXT) | instid1(VALU_DEP_3)
	v_dual_sub_f32 v141, v120, v126 :: v_dual_fmac_f32 v146, 0x3e9e377a, v0
	v_fmac_f32_e32 v204, 0x3f167918, v3
	v_fmac_f32_e32 v107, 0x3f737871, v102
	v_fma_f32 v102, -0.5, v103, v100
	v_fmac_f32_e32 v148, 0x3e9e377a, v0
	v_dual_add_f32 v2, v2, v122 :: v_dual_add_f32 v205, v123, v239
	v_fmac_f32_e32 v204, 0x3e9e377a, v1
	s_delay_alu instid0(VALU_DEP_4)
	v_dual_fmamk_f32 v0, v141, 0xbf737871, v102 :: v_dual_sub_f32 v103, v123, v122
	v_fmac_f32_e32 v102, 0x3f737871, v141
	v_fmac_f32_e32 v107, 0xbf167918, v3
	v_sub_f32_e32 v3, v121, v124
	v_sub_f32_e32 v151, v239, v125
	v_add_f32_e32 v2, v2, v125
	v_fma_f32 v100, -0.5, v205, v100
	s_delay_alu instid0(VALU_DEP_4) | instskip(SKIP_1) | instid1(VALU_DEP_3)
	v_fmac_f32_e32 v0, 0xbf167918, v3
	v_fmac_f32_e32 v102, 0x3f167918, v3
	v_dual_add_f32 v205, v2, v239 :: v_dual_fmamk_f32 v2, v3, 0x3f737871, v100
	v_add_f32_e32 v103, v103, v151
	v_fmac_f32_e32 v100, 0xbf737871, v3
	v_sub_f32_e32 v151, v122, v123
	v_add_f32_e32 v3, v101, v120
	v_sub_f32_e32 v206, v125, v239
	v_fmac_f32_e32 v2, 0xbf167918, v141
	v_dual_fmac_f32 v107, 0x3e9e377a, v1 :: v_dual_fmac_f32 v0, 0x3e9e377a, v103
	v_dual_add_f32 v1, v121, v124 :: v_dual_fmac_f32 v102, 0x3e9e377a, v103
	v_fmac_f32_e32 v100, 0x3f167918, v141
	v_add_f32_e32 v3, v3, v121
	v_add_f32_e32 v151, v151, v206
	;; [unrolled: 1-line block ×3, first 2 shown]
	v_fma_f32 v103, -0.5, v1, v101
	v_dual_sub_f32 v123, v123, v239 :: v_dual_sub_f32 v122, v122, v125
	s_delay_alu instid0(VALU_DEP_4)
	v_fmac_f32_e32 v2, 0x3e9e377a, v151
	v_dual_fmac_f32 v100, 0x3e9e377a, v151 :: v_dual_add_f32 v125, v3, v124
	v_sub_f32_e32 v151, v126, v124
	v_fmac_f32_e32 v101, -0.5, v141
	v_sub_f32_e32 v141, v120, v121
	v_dual_fmamk_f32 v1, v123, 0x3f737871, v103 :: v_dual_sub_f32 v120, v121, v120
	v_fmac_f32_e32 v103, 0xbf737871, v123
	v_sub_f32_e32 v121, v124, v126
	v_add_f32_e32 v206, v125, v126
	v_dual_add_f32 v124, v141, v151 :: v_dual_fmamk_f32 v3, v122, 0xbf737871, v101
	v_fmac_f32_e32 v101, 0x3f737871, v122
	s_delay_alu instid0(VALU_DEP_4) | instskip(SKIP_1) | instid1(VALU_DEP_4)
	v_dual_fmac_f32 v1, 0x3f167918, v122 :: v_dual_add_f32 v120, v120, v121
	v_fmac_f32_e32 v103, 0xbf167918, v122
	v_fmac_f32_e32 v3, 0x3f167918, v123
	s_delay_alu instid0(VALU_DEP_4) | instskip(NEXT) | instid1(VALU_DEP_4)
	v_fmac_f32_e32 v101, 0xbf167918, v123
	v_fmac_f32_e32 v1, 0x3e9e377a, v124
	s_delay_alu instid0(VALU_DEP_4) | instskip(NEXT) | instid1(VALU_DEP_4)
	v_fmac_f32_e32 v103, 0x3e9e377a, v124
	v_fmac_f32_e32 v3, 0x3e9e377a, v120
	s_delay_alu instid0(VALU_DEP_4)
	v_fmac_f32_e32 v101, 0x3e9e377a, v120
	ds_store_2addr_b64 v245, v[114:115], v[6:7] offset1:8
	ds_store_2addr_b64 v245, v[112:113], v[108:109] offset0:16 offset1:24
	ds_store_b64 v245, v[4:5] offset:256
	ds_store_2addr_b64 v249, v[131:132], v[129:130] offset1:8
	ds_store_2addr_b64 v249, v[133:134], v[110:111] offset0:16 offset1:24
	ds_store_b64 v249, v[127:128] offset:256
	;; [unrolled: 3-line block ×5, first 2 shown]
	global_wb scope:SCOPE_SE
	s_wait_dscnt 0x0
	s_barrier_signal -1
	s_barrier_wait -1
	global_inv scope:SCOPE_SE
	ds_load_2addr_b64 v[104:107], v209 offset1:56
	ds_load_2addr_b64 v[4:7], v209 offset0:112 offset1:200
	ds_load_2addr_b64 v[136:139], v119 offset0:144 offset1:200
	ds_load_2addr_b64 v[112:115], v116 offset1:88
	ds_load_2addr_b64 v[132:135], v118 offset0:32 offset1:88
	ds_load_2addr_b64 v[108:111], v118 offset0:144 offset1:232
	;; [unrolled: 1-line block ×3, first 2 shown]
	ds_load_2addr_b64 v[128:131], v119 offset1:56
	ds_load_2addr_b64 v[120:123], v116 offset0:144 offset1:200
	ds_load_2addr_b64 v[116:119], v117 offset0:32 offset1:88
	ds_load_b64 v[140:141], v209 offset:10496
	s_and_saveexec_b32 s1, s0
	s_cbranch_execz .LBB0_35
; %bb.34:
	v_add_nc_u32_e32 v72, 0x1100, v209
	v_add_nc_u32_e32 v73, 0x1e00, v209
	ds_load_2addr_b64 v[0:3], v142 offset0:40 offset1:240
	ds_load_2addr_b64 v[100:103], v72 offset0:24 offset1:224
	;; [unrolled: 1-line block ×3, first 2 shown]
	ds_load_b64 v[207:208], v209 offset:10944
.LBB0_35:
	s_wait_alu 0xfffe
	s_or_b32 exec_lo, exec_lo, s1
	s_wait_dscnt 0x8
	v_dual_mul_f32 v142, v21, v7 :: v_dual_mul_f32 v143, v23, v137
	v_mul_f32_e32 v21, v21, v6
	s_wait_dscnt 0x7
	v_dual_mul_f32 v23, v23, v136 :: v_dual_mul_f32 v144, v45, v115
	s_delay_alu instid0(VALU_DEP_3)
	v_dual_fmac_f32 v142, v20, v6 :: v_dual_fmac_f32 v143, v22, v136
	v_mul_f32_e32 v6, v45, v114
	v_fma_f32 v7, v20, v7, -v21
	s_wait_dscnt 0x6
	v_mul_f32_e32 v21, v47, v133
	v_fma_f32 v20, v22, v137, -v23
	s_wait_dscnt 0x5
	v_dual_fmac_f32 v144, v44, v114 :: v_dual_mul_f32 v23, v49, v111
	v_fma_f32 v6, v44, v115, -v6
	s_wait_dscnt 0x4
	v_dual_mul_f32 v44, v49, v110 :: v_dual_mul_f32 v45, v51, v125
	v_mul_f32_e32 v22, v47, v132
	v_fmac_f32_e32 v21, v46, v132
	v_fmac_f32_e32 v23, v48, v110
	s_delay_alu instid0(VALU_DEP_4)
	v_fma_f32 v44, v48, v111, -v44
	s_wait_dscnt 0x3
	v_dual_mul_f32 v48, v43, v139 :: v_dual_mul_f32 v47, v41, v129
	v_dual_mul_f32 v41, v41, v128 :: v_dual_mul_f32 v110, v27, v127
	v_mul_f32_e32 v43, v43, v138
	v_fma_f32 v22, v46, v133, -v22
	v_fmac_f32_e32 v45, v50, v124
	v_mul_f32_e32 v46, v51, v124
	v_dual_fmac_f32 v48, v42, v138 :: v_dual_fmac_f32 v47, v40, v128
	v_fma_f32 v40, v40, v129, -v41
	v_fma_f32 v41, v42, v139, -v43
	s_wait_dscnt 0x2
	v_mul_f32_e32 v42, v29, v121
	v_dual_mul_f32 v29, v29, v120 :: v_dual_fmac_f32 v110, v26, v126
	s_wait_dscnt 0x1
	v_mul_f32_e32 v49, v25, v117
	v_mul_f32_e32 v25, v25, v116
	v_fma_f32 v46, v50, v125, -v46
	v_fmac_f32_e32 v42, v28, v120
	v_fma_f32 v50, v28, v121, -v29
	v_dual_fmac_f32 v49, v24, v116 :: v_dual_mul_f32 v116, v35, v113
	v_mul_f32_e32 v43, v31, v135
	v_mul_f32_e32 v111, v33, v131
	;; [unrolled: 1-line block ×3, first 2 shown]
	v_fma_f32 v33, v24, v117, -v25
	v_mul_f32_e32 v24, v35, v112
	v_mul_f32_e32 v27, v27, v126
	v_dual_mul_f32 v25, v37, v122 :: v_dual_mul_f32 v120, v39, v109
	v_fmac_f32_e32 v116, v34, v112
	v_fmac_f32_e32 v43, v30, v134
	v_fma_f32 v112, v34, v113, -v24
	v_mul_f32_e32 v24, v39, v108
	v_dual_mul_f32 v31, v31, v134 :: v_dual_fmac_f32 v120, v38, v108
	v_fmac_f32_e32 v111, v32, v130
	v_mul_f32_e32 v117, v37, v123
	v_fma_f32 v113, v36, v123, -v25
	v_mul_f32_e32 v108, v53, v119
	v_fma_f32 v114, v26, v127, -v27
	v_mul_f32_e32 v25, v53, v118
	s_wait_dscnt 0x0
	v_mul_f32_e32 v53, v55, v141
	v_mul_f32_e32 v26, v55, v140
	v_fma_f32 v55, v38, v109, -v24
	v_dual_add_f32 v24, v142, v45 :: v_dual_add_f32 v27, v143, v23
	v_fma_f32 v51, v30, v135, -v31
	v_add_f32_e32 v30, v6, v22
	v_fma_f32 v115, v32, v131, -v28
	v_fmac_f32_e32 v117, v36, v122
	v_fmac_f32_e32 v108, v52, v118
	v_add_f32_e32 v28, v20, v44
	v_fma_f32 v52, v52, v119, -v25
	v_dual_sub_f32 v23, v143, v23 :: v_dual_sub_f32 v6, v22, v6
	v_sub_f32_e32 v20, v20, v44
	v_dual_add_f32 v29, v144, v21 :: v_dual_sub_f32 v32, v27, v24
	v_add_f32_e32 v25, v7, v46
	v_add_f32_e32 v22, v27, v24
	s_delay_alu instid0(VALU_DEP_3) | instskip(NEXT) | instid1(VALU_DEP_3)
	v_dual_sub_f32 v7, v7, v46 :: v_dual_sub_f32 v24, v24, v29
	v_dual_fmac_f32 v53, v54, v140 :: v_dual_sub_f32 v34, v28, v25
	v_dual_add_f32 v31, v28, v25 :: v_dual_add_f32 v36, v6, v20
	v_sub_f32_e32 v28, v30, v28
	v_sub_f32_e32 v21, v21, v144
	v_add_f32_e32 v22, v29, v22
	v_fma_f32 v54, v54, v141, -v26
	v_dual_sub_f32 v26, v142, v45 :: v_dual_sub_f32 v25, v25, v30
	v_sub_f32_e32 v38, v6, v20
	v_sub_f32_e32 v20, v20, v7
	v_add_f32_e32 v35, v21, v23
	v_dual_sub_f32 v37, v21, v23 :: v_dual_mul_f32 v24, 0x3f4a47b2, v24
	v_sub_f32_e32 v39, v7, v6
	v_dual_add_f32 v6, v104, v22 :: v_dual_sub_f32 v27, v29, v27
	v_add_f32_e32 v29, v30, v31
	v_dual_sub_f32 v21, v26, v21 :: v_dual_add_f32 v30, v36, v7
	v_dual_sub_f32 v23, v23, v26 :: v_dual_mul_f32 v44, 0xbf5ff5aa, v20
	s_delay_alu instid0(VALU_DEP_3)
	v_dual_add_f32 v26, v35, v26 :: v_dual_add_f32 v7, v105, v29
	v_mul_f32_e32 v35, 0x3d64c772, v28
	v_mul_f32_e32 v31, 0x3d64c772, v27
	v_mul_f32_e32 v36, 0x3f08b237, v37
	v_fmamk_f32 v27, v27, 0x3d64c772, v24
	v_fma_f32 v24, 0xbf3bfb3b, v32, -v24
	v_fma_f32 v35, 0x3f3bfb3b, v34, -v35
	v_mul_f32_e32 v37, 0x3f08b237, v38
	v_mul_f32_e32 v38, 0xbf5ff5aa, v23
	v_dual_fmamk_f32 v22, v22, 0xbf955555, v6 :: v_dual_fmamk_f32 v29, v29, 0xbf955555, v7
	v_mul_f32_e32 v25, 0x3f4a47b2, v25
	global_wb scope:SCOPE_SE
	v_fma_f32 v38, 0x3eae86e6, v21, -v38
	s_barrier_signal -1
	s_barrier_wait -1
	v_fmamk_f32 v28, v28, 0x3d64c772, v25
	v_fma_f32 v25, 0xbf3bfb3b, v34, -v25
	v_fma_f32 v31, 0x3f3bfb3b, v32, -v31
	v_fmamk_f32 v32, v21, 0xbeae86e6, v36
	v_fma_f32 v36, 0xbf5ff5aa, v23, -v36
	v_add_f32_e32 v45, v28, v29
	v_add_f32_e32 v28, v35, v29
	v_fmamk_f32 v34, v39, 0xbeae86e6, v37
	v_fma_f32 v37, 0xbf5ff5aa, v20, -v37
	v_fma_f32 v39, 0x3eae86e6, v39, -v44
	v_dual_add_f32 v29, v25, v29 :: v_dual_fmac_f32 v32, 0xbee1c552, v26
	v_fmac_f32_e32 v38, 0xbee1c552, v26
	v_add_f32_e32 v44, v27, v22
	v_add_f32_e32 v27, v31, v22
	;; [unrolled: 1-line block ×3, first 2 shown]
	v_dual_fmac_f32 v34, 0xbee1c552, v30 :: v_dual_sub_f32 v21, v45, v32
	v_fmac_f32_e32 v36, 0xbee1c552, v26
	v_fmac_f32_e32 v37, 0xbee1c552, v30
	v_sub_f32_e32 v23, v29, v38
	v_add_f32_e32 v29, v38, v29
	v_dual_add_f32 v38, v41, v33 :: v_dual_fmac_f32 v39, 0xbee1c552, v30
	s_delay_alu instid0(VALU_DEP_4) | instskip(SKIP_2) | instid1(VALU_DEP_4)
	v_sub_f32_e32 v24, v27, v37
	v_add_f32_e32 v20, v34, v44
	v_dual_add_f32 v25, v36, v28 :: v_dual_add_f32 v26, v37, v27
	v_dual_sub_f32 v27, v28, v36 :: v_dual_add_f32 v22, v39, v31
	v_sub_f32_e32 v28, v31, v39
	v_dual_sub_f32 v30, v44, v34 :: v_dual_sub_f32 v33, v41, v33
	v_dual_add_f32 v31, v32, v45 :: v_dual_add_f32 v32, v47, v110
	v_dual_add_f32 v34, v40, v114 :: v_dual_add_f32 v41, v50, v51
	v_add_f32_e32 v37, v48, v49
	v_sub_f32_e32 v36, v40, v114
	v_add_f32_e32 v40, v42, v43
	v_sub_f32_e32 v42, v43, v42
	s_delay_alu instid0(VALU_DEP_4) | instskip(SKIP_1) | instid1(VALU_DEP_4)
	v_dual_sub_f32 v35, v47, v110 :: v_dual_add_f32 v44, v37, v32
	v_dual_sub_f32 v39, v48, v49 :: v_dual_sub_f32 v46, v37, v32
	v_dual_sub_f32 v43, v51, v50 :: v_dual_sub_f32 v48, v32, v40
	v_add_f32_e32 v45, v38, v34
	s_delay_alu instid0(VALU_DEP_3) | instskip(NEXT) | instid1(VALU_DEP_3)
	v_dual_sub_f32 v37, v40, v37 :: v_dual_add_f32 v32, v42, v39
	v_sub_f32_e32 v51, v43, v33
	v_add_f32_e32 v49, v43, v33
	v_sub_f32_e32 v47, v38, v34
	v_dual_sub_f32 v34, v34, v41 :: v_dual_sub_f32 v43, v36, v43
	v_sub_f32_e32 v38, v41, v38
	v_add_f32_e32 v40, v40, v44
	v_dual_sub_f32 v50, v42, v39 :: v_dual_add_f32 v41, v41, v45
	v_dual_sub_f32 v39, v39, v35 :: v_dual_sub_f32 v44, v33, v36
	v_add_f32_e32 v36, v49, v36
	v_dual_sub_f32 v42, v35, v42 :: v_dual_add_f32 v35, v32, v35
	s_delay_alu instid0(VALU_DEP_4)
	v_dual_add_f32 v32, v106, v40 :: v_dual_add_f32 v33, v107, v41
	v_dual_mul_f32 v45, 0x3f4a47b2, v48 :: v_dual_mul_f32 v34, 0x3f4a47b2, v34
	v_dual_mul_f32 v48, 0x3d64c772, v37 :: v_dual_mul_f32 v49, 0x3d64c772, v38
	;; [unrolled: 1-line block ×4, first 2 shown]
	v_dual_fmamk_f32 v40, v40, 0xbf955555, v32 :: v_dual_fmamk_f32 v41, v41, 0xbf955555, v33
	v_dual_fmamk_f32 v37, v37, 0x3d64c772, v45 :: v_dual_fmamk_f32 v38, v38, 0x3d64c772, v34
	v_fma_f32 v48, 0x3f3bfb3b, v46, -v48
	v_fma_f32 v49, 0x3f3bfb3b, v47, -v49
	;; [unrolled: 1-line block ×4, first 2 shown]
	v_dual_fmamk_f32 v46, v42, 0xbeae86e6, v50 :: v_dual_fmamk_f32 v47, v43, 0xbeae86e6, v51
	v_fma_f32 v50, 0xbf5ff5aa, v39, -v50
	v_fma_f32 v44, 0xbf5ff5aa, v44, -v51
	;; [unrolled: 1-line block ×4, first 2 shown]
	v_dual_add_f32 v104, v37, v40 :: v_dual_add_f32 v105, v38, v41
	v_dual_add_f32 v43, v48, v40 :: v_dual_add_f32 v48, v49, v41
	v_dual_add_f32 v45, v45, v40 :: v_dual_fmac_f32 v46, 0xbee1c552, v35
	v_dual_add_f32 v49, v34, v41 :: v_dual_fmac_f32 v50, 0xbee1c552, v35
	v_dual_fmac_f32 v42, 0xbee1c552, v36 :: v_dual_fmac_f32 v51, 0xbee1c552, v35
	v_fmac_f32_e32 v47, 0xbee1c552, v36
	s_delay_alu instid0(VALU_DEP_4) | instskip(NEXT) | instid1(VALU_DEP_3)
	v_dual_fmac_f32 v44, 0xbee1c552, v36 :: v_dual_sub_f32 v35, v105, v46
	v_dual_add_f32 v36, v42, v45 :: v_dual_sub_f32 v37, v49, v51
	s_delay_alu instid0(VALU_DEP_3) | instskip(NEXT) | instid1(VALU_DEP_3)
	v_add_f32_e32 v34, v47, v104
	v_dual_sub_f32 v38, v43, v44 :: v_dual_sub_f32 v41, v48, v50
	v_dual_add_f32 v39, v50, v48 :: v_dual_add_f32 v40, v44, v43
	v_dual_sub_f32 v42, v45, v42 :: v_dual_add_f32 v43, v51, v49
	v_dual_sub_f32 v44, v104, v47 :: v_dual_add_f32 v45, v46, v105
	v_dual_add_f32 v46, v111, v53 :: v_dual_add_f32 v51, v112, v52
	v_dual_add_f32 v47, v115, v54 :: v_dual_add_f32 v50, v116, v108
	v_dual_sub_f32 v48, v111, v53 :: v_dual_sub_f32 v53, v116, v108
	v_dual_sub_f32 v49, v115, v54 :: v_dual_sub_f32 v52, v112, v52
	v_dual_add_f32 v54, v117, v120 :: v_dual_sub_f32 v105, v120, v117
	v_dual_add_f32 v104, v113, v55 :: v_dual_sub_f32 v55, v55, v113
	v_dual_add_f32 v106, v50, v46 :: v_dual_add_f32 v107, v51, v47
	v_dual_sub_f32 v108, v50, v46 :: v_dual_sub_f32 v109, v51, v47
	s_delay_alu instid0(VALU_DEP_3)
	v_dual_sub_f32 v46, v46, v54 :: v_dual_sub_f32 v47, v47, v104
	v_dual_sub_f32 v50, v54, v50 :: v_dual_sub_f32 v51, v104, v51
	v_dual_add_f32 v110, v105, v53 :: v_dual_add_f32 v111, v55, v52
	v_dual_sub_f32 v112, v105, v53 :: v_dual_sub_f32 v113, v55, v52
	v_dual_sub_f32 v53, v53, v48 :: v_dual_add_f32 v104, v104, v107
	v_dual_sub_f32 v105, v48, v105 :: v_dual_add_f32 v54, v54, v106
	v_dual_sub_f32 v55, v49, v55 :: v_dual_sub_f32 v52, v52, v49
	v_dual_add_f32 v48, v110, v48 :: v_dual_add_f32 v49, v111, v49
	v_dual_mul_f32 v46, 0x3f4a47b2, v46 :: v_dual_mul_f32 v47, 0x3f4a47b2, v47
	v_dual_mul_f32 v106, 0x3d64c772, v50 :: v_dual_mul_f32 v107, 0x3d64c772, v51
	;; [unrolled: 1-line block ×4, first 2 shown]
	v_dual_add_f32 v4, v4, v54 :: v_dual_add_f32 v5, v5, v104
	v_dual_fmamk_f32 v50, v50, 0x3d64c772, v46 :: v_dual_fmamk_f32 v51, v51, 0x3d64c772, v47
	v_fma_f32 v106, 0x3f3bfb3b, v108, -v106
	v_fma_f32 v46, 0xbf3bfb3b, v108, -v46
	v_fmamk_f32 v108, v105, 0xbeae86e6, v110
	v_fma_f32 v52, 0xbf5ff5aa, v52, -v111
	v_fma_f32 v105, 0x3eae86e6, v105, -v112
	;; [unrolled: 1-line block ×4, first 2 shown]
	v_fmamk_f32 v109, v55, 0xbeae86e6, v111
	v_fma_f32 v53, 0xbf5ff5aa, v53, -v110
	v_fma_f32 v55, 0x3eae86e6, v55, -v113
	v_dual_fmac_f32 v105, 0xbee1c552, v48 :: v_dual_fmac_f32 v52, 0xbee1c552, v49
	v_fmac_f32_e32 v108, 0xbee1c552, v48
	v_fmamk_f32 v104, v104, 0xbf955555, v5
	v_fmamk_f32 v54, v54, 0xbf955555, v4
	v_fmac_f32_e32 v109, 0xbee1c552, v49
	v_fmac_f32_e32 v53, 0xbee1c552, v48
	;; [unrolled: 1-line block ×3, first 2 shown]
	s_delay_alu instid0(VALU_DEP_4) | instskip(SKIP_3) | instid1(VALU_DEP_4)
	v_dual_add_f32 v111, v51, v104 :: v_dual_add_f32 v110, v50, v54
	v_dual_add_f32 v107, v107, v104 :: v_dual_add_f32 v106, v106, v54
	v_add_f32_e32 v54, v46, v54
	v_add_f32_e32 v104, v47, v104
	;; [unrolled: 1-line block ×3, first 2 shown]
	s_delay_alu instid0(VALU_DEP_4) | instskip(SKIP_1) | instid1(VALU_DEP_4)
	v_add_f32_e32 v51, v53, v107
	v_sub_f32_e32 v53, v107, v53
	v_dual_add_f32 v48, v55, v54 :: v_dual_sub_f32 v49, v104, v105
	v_sub_f32_e32 v47, v111, v108
	v_sub_f32_e32 v50, v106, v52
	v_add_f32_e32 v52, v52, v106
	v_dual_sub_f32 v54, v54, v55 :: v_dual_add_f32 v55, v105, v104
	v_dual_sub_f32 v104, v110, v109 :: v_dual_add_f32 v105, v108, v111
	global_inv scope:SCOPE_SE
	ds_store_2addr_b64 v250, v[6:7], v[20:21] offset1:40
	ds_store_2addr_b64 v250, v[22:23], v[24:25] offset0:80 offset1:120
	ds_store_2addr_b64 v250, v[26:27], v[28:29] offset0:160 offset1:200
	ds_store_b64 v250, v[30:31] offset:1920
	ds_store_2addr_b64 v251, v[32:33], v[34:35] offset1:40
	ds_store_2addr_b64 v251, v[36:37], v[38:39] offset0:80 offset1:120
	ds_store_2addr_b64 v251, v[40:41], v[42:43] offset0:160 offset1:200
	ds_store_b64 v251, v[44:45] offset:1920
	;; [unrolled: 4-line block ×3, first 2 shown]
	s_and_saveexec_b32 s1, s0
	s_cbranch_execz .LBB0_37
; %bb.36:
	v_dual_mul_f32 v4, v9, v3 :: v_dual_mul_f32 v5, v15, v73
	v_dual_mul_f32 v6, v13, v103 :: v_dual_mul_f32 v7, v11, v101
	;; [unrolled: 1-line block ×3, first 2 shown]
	s_delay_alu instid0(VALU_DEP_2) | instskip(NEXT) | instid1(VALU_DEP_2)
	v_dual_fmac_f32 v5, v14, v72 :: v_dual_fmac_f32 v6, v12, v102
	v_dual_fmac_f32 v7, v10, v100 :: v_dual_fmac_f32 v20, v16, v74
	s_delay_alu instid0(VALU_DEP_3) | instskip(NEXT) | instid1(VALU_DEP_3)
	v_dual_fmac_f32 v4, v8, v2 :: v_dual_fmac_f32 v21, v18, v207
	v_dual_sub_f32 v22, v5, v6 :: v_dual_mul_f32 v19, v19, v207
	s_delay_alu instid0(VALU_DEP_3) | instskip(NEXT) | instid1(VALU_DEP_3)
	v_dual_sub_f32 v23, v7, v20 :: v_dual_mul_f32 v2, v9, v2
	v_dual_sub_f32 v24, v4, v21 :: v_dual_mul_f32 v17, v17, v74
	s_delay_alu instid0(VALU_DEP_3) | instskip(NEXT) | instid1(VALU_DEP_3)
	v_fma_f32 v9, v18, v208, -v19
	v_sub_f32_e32 v25, v22, v23
	s_delay_alu instid0(VALU_DEP_4) | instskip(NEXT) | instid1(VALU_DEP_4)
	v_fma_f32 v2, v8, v3, -v2
	v_sub_f32_e32 v18, v24, v22
	v_mul_f32_e32 v8, v15, v72
	s_delay_alu instid0(VALU_DEP_4)
	v_dual_add_f32 v4, v21, v4 :: v_dual_mul_f32 v19, 0x3f08b237, v25
	v_mul_f32_e32 v3, v13, v102
	v_fma_f32 v13, v16, v75, -v17
	v_mul_f32_e32 v11, v11, v100
	v_fma_f32 v8, v14, v73, -v8
	v_fmamk_f32 v14, v18, 0xbeae86e6, v19
	v_fma_f32 v3, v12, v103, -v3
	v_add_f32_e32 v15, v9, v2
	v_fma_f32 v10, v10, v101, -v11
	v_add_f32_e32 v5, v5, v6
	v_add_f32_e32 v7, v20, v7
	v_add_f32_e32 v16, v8, v3
	s_delay_alu instid0(VALU_DEP_4) | instskip(SKIP_1) | instid1(VALU_DEP_4)
	v_dual_add_f32 v11, v22, v23 :: v_dual_add_f32 v12, v13, v10
	v_sub_f32_e32 v23, v23, v24
	v_add_f32_e32 v6, v7, v4
	s_delay_alu instid0(VALU_DEP_4) | instskip(NEXT) | instid1(VALU_DEP_4)
	v_sub_f32_e32 v22, v15, v16
	v_add_f32_e32 v11, v11, v24
	v_dual_add_f32 v17, v12, v15 :: v_dual_sub_f32 v10, v10, v13
	s_delay_alu instid0(VALU_DEP_4) | instskip(NEXT) | instid1(VALU_DEP_4)
	v_add_f32_e32 v6, v5, v6
	v_mul_f32_e32 v20, 0x3f4a47b2, v22
	s_delay_alu instid0(VALU_DEP_3) | instskip(NEXT) | instid1(VALU_DEP_1)
	v_dual_fmac_f32 v14, 0xbee1c552, v11 :: v_dual_add_f32 v17, v16, v17
	v_dual_sub_f32 v16, v16, v12 :: v_dual_add_f32 v1, v1, v17
	s_delay_alu instid0(VALU_DEP_1) | instskip(NEXT) | instid1(VALU_DEP_4)
	v_dual_sub_f32 v22, v4, v5 :: v_dual_mul_f32 v21, 0x3d64c772, v16
	v_dual_fmamk_f32 v16, v16, 0x3d64c772, v20 :: v_dual_sub_f32 v5, v5, v7
	s_delay_alu instid0(VALU_DEP_3) | instskip(NEXT) | instid1(VALU_DEP_3)
	v_dual_fmamk_f32 v17, v17, 0xbf955555, v1 :: v_dual_sub_f32 v8, v8, v3
	v_mul_f32_e32 v13, 0x3f4a47b2, v22
	v_add_f32_e32 v0, v0, v6
	v_sub_f32_e32 v2, v2, v9
	s_delay_alu instid0(VALU_DEP_4) | instskip(NEXT) | instid1(VALU_DEP_4)
	v_dual_sub_f32 v4, v7, v4 :: v_dual_sub_f32 v3, v8, v10
	v_dual_add_f32 v16, v16, v17 :: v_dual_fmamk_f32 v9, v5, 0x3d64c772, v13
	s_delay_alu instid0(VALU_DEP_4) | instskip(NEXT) | instid1(VALU_DEP_4)
	v_fmamk_f32 v6, v6, 0xbf955555, v0
	v_dual_sub_f32 v12, v12, v15 :: v_dual_sub_f32 v7, v10, v2
	s_delay_alu instid0(VALU_DEP_4) | instskip(NEXT) | instid1(VALU_DEP_3)
	v_mul_f32_e32 v25, 0x3f08b237, v3
	v_dual_add_f32 v3, v14, v16 :: v_dual_add_f32 v24, v9, v6
	v_dual_mul_f32 v9, 0xbf5ff5aa, v23 :: v_dual_sub_f32 v22, v2, v8
	v_dual_mul_f32 v5, 0x3d64c772, v5 :: v_dual_add_f32 v8, v8, v10
	v_mul_f32_e32 v15, 0xbf5ff5aa, v7
	s_delay_alu instid0(VALU_DEP_3)
	v_fma_f32 v10, 0x3eae86e6, v18, -v9
	v_fma_f32 v9, 0xbf3bfb3b, v12, -v20
	;; [unrolled: 1-line block ×4, first 2 shown]
	v_fmamk_f32 v26, v22, 0xbeae86e6, v25
	v_fma_f32 v15, 0x3eae86e6, v22, -v15
	v_add_f32_e32 v18, v9, v17
	v_fma_f32 v9, 0xbf5ff5aa, v23, -v19
	v_add_f32_e32 v2, v8, v2
	v_fma_f32 v8, 0x3f3bfb3b, v12, -v21
	v_fma_f32 v12, 0xbf5ff5aa, v7, -v25
	s_delay_alu instid0(VALU_DEP_4) | instskip(NEXT) | instid1(VALU_DEP_4)
	v_fmac_f32_e32 v9, 0xbee1c552, v11
	v_dual_fmac_f32 v10, 0xbee1c552, v11 :: v_dual_fmac_f32 v15, 0xbee1c552, v2
	s_delay_alu instid0(VALU_DEP_4) | instskip(SKIP_2) | instid1(VALU_DEP_4)
	v_add_f32_e32 v8, v8, v17
	v_add_f32_e32 v11, v4, v6
	v_dual_fmac_f32 v26, 0xbee1c552, v2 :: v_dual_lshlrev_b32 v17, 3, v232
	v_add_f32_e32 v5, v10, v18
	v_fmac_f32_e32 v12, 0xbee1c552, v2
	v_dual_add_f32 v20, v13, v6 :: v_dual_sub_f32 v7, v8, v9
	v_add_f32_e32 v9, v9, v8
	v_sub_f32_e32 v13, v16, v14
	s_delay_alu instid0(VALU_DEP_4)
	v_add_f32_e32 v6, v12, v11
	v_sub_f32_e32 v8, v11, v12
	v_add_f32_e32 v12, v26, v24
	v_add_nc_u32_e32 v14, 0x2000, v17
	v_dual_sub_f32 v4, v20, v15 :: v_dual_sub_f32 v11, v18, v10
	v_dual_add_f32 v10, v15, v20 :: v_dual_add_nc_u32 v15, 0x2800, v17
	v_sub_f32_e32 v2, v24, v26
	ds_store_2addr_b64 v14, v[0:1], v[12:13] offset0:96 offset1:136
	ds_store_2addr_b64 v14, v[10:11], v[8:9] offset0:176 offset1:216
	ds_store_2addr_b64 v15, v[6:7], v[4:5] offset1:40
	ds_store_b64 v17, v[2:3] offset:10880
.LBB0_37:
	s_wait_alu 0xfffe
	s_or_b32 exec_lo, exec_lo, s1
	v_add_nc_u32_e32 v23, 0x400, v209
	v_add_nc_u32_e32 v18, 0x1000, v209
	;; [unrolled: 1-line block ×3, first 2 shown]
	global_wb scope:SCOPE_SE
	s_wait_dscnt 0x0
	s_barrier_signal -1
	s_barrier_wait -1
	global_inv scope:SCOPE_SE
	ds_load_2addr_b64 v[0:3], v23 offset0:96 offset1:152
	ds_load_2addr_b64 v[12:15], v18 offset0:48 offset1:104
	;; [unrolled: 1-line block ×3, first 2 shown]
	ds_load_2addr_b64 v[8:11], v209 offset1:56
	v_add_nc_u32_e32 v21, 0x800, v209
	v_add_nc_u32_e32 v20, 0x2000, v209
	ds_load_2addr_b64 v[4:7], v209 offset0:112 offset1:168
	s_mov_b32 s2, 0xe434a9b1
	s_mov_b32 s3, 0x3f4767dc
	s_wait_dscnt 0x4
	v_dual_mul_f32 v72, v69, v3 :: v_dual_add_nc_u32 v19, 0x2400, v209
	s_wait_dscnt 0x2
	v_dual_mul_f32 v74, v61, v31 :: v_dual_mul_f32 v73, v71, v13
	v_mul_f32_e32 v69, v69, v2
	v_mul_f32_e32 v71, v71, v12
	v_mul_f32_e32 v61, v61, v30
	s_delay_alu instid0(VALU_DEP_4)
	v_fmac_f32_e32 v74, v60, v30
	v_dual_fmac_f32 v73, v70, v12 :: v_dual_add_nc_u32 v52, 0x1c00, v209
	v_fmac_f32_e32 v72, v68, v2
	ds_load_2addr_b64 v[24:27], v20 offset0:96 offset1:152
	ds_load_b64 v[16:17], v209 offset:10752
	ds_load_2addr_b64 v[32:35], v21 offset0:80 offset1:136
	ds_load_2addr_b64 v[36:39], v22 offset0:128 offset1:184
	;; [unrolled: 1-line block ×6, first 2 shown]
	v_fma_f32 v68, v68, v3, -v69
	v_fma_f32 v31, v60, v31, -v61
	;; [unrolled: 1-line block ×3, first 2 shown]
	s_wait_dscnt 0x7
	v_mul_f32_e32 v12, v67, v26
	s_wait_dscnt 0x5
	v_mul_f32_e32 v60, v57, v33
	v_mul_f32_e32 v3, v57, v32
	;; [unrolled: 1-line block ×4, first 2 shown]
	s_delay_alu instid0(VALU_DEP_4) | instskip(NEXT) | instid1(VALU_DEP_3)
	v_dual_mul_f32 v13, v63, v25 :: v_dual_fmac_f32 v60, v56, v32
	v_dual_sub_f32 v32, v69, v31 :: v_dual_fmac_f32 v57, v58, v14
	s_delay_alu instid0(VALU_DEP_3)
	v_fma_f32 v61, v62, v25, -v2
	s_wait_dscnt 0x4
	v_dual_mul_f32 v2, v59, v14 :: v_dual_mul_f32 v59, v65, v37
	v_dual_fmac_f32 v13, v62, v24 :: v_dual_mul_f32 v62, v67, v27
	v_fma_f32 v56, v56, v33, -v3
	v_mul_f32_e32 v3, v65, v36
	s_delay_alu instid0(VALU_DEP_4) | instskip(SKIP_2) | instid1(VALU_DEP_4)
	v_fma_f32 v58, v58, v15, -v2
	v_dual_fmac_f32 v59, v64, v36 :: v_dual_mul_f32 v2, v77, v34
	v_dual_mul_f32 v65, v77, v35 :: v_dual_fmac_f32 v62, v66, v26
	v_fma_f32 v63, v64, v37, -v3
	v_fma_f32 v64, v66, v27, -v12
	s_wait_dscnt 0x3
	v_mul_f32_e32 v66, v79, v41
	v_mul_f32_e32 v3, v79, v40
	;; [unrolled: 1-line block ×3, first 2 shown]
	v_fmac_f32_e32 v65, v76, v34
	v_fma_f32 v70, v76, v35, -v2
	s_wait_dscnt 0x1
	v_mul_f32_e32 v76, v97, v49
	v_dual_mul_f32 v2, v81, v38 :: v_dual_mul_f32 v75, v83, v45
	v_fmac_f32_e32 v66, v78, v40
	v_fma_f32 v71, v78, v41, -v3
	s_delay_alu instid0(VALU_DEP_4)
	v_fmac_f32_e32 v76, v96, v48
	v_dual_fmac_f32 v67, v80, v38 :: v_dual_mul_f32 v12, v97, v48
	v_fma_f32 v77, v80, v39, -v2
	v_dual_fmac_f32 v75, v82, v44 :: v_dual_mul_f32 v80, v99, v43
	v_mul_f32_e32 v3, v83, v44
	s_wait_dscnt 0x0
	v_dual_mul_f32 v2, v99, v42 :: v_dual_mul_f32 v81, v89, v53
	v_fma_f32 v79, v96, v49, -v12
	v_fmac_f32_e32 v80, v98, v42
	v_fma_f32 v78, v82, v45, -v3
	v_dual_mul_f32 v3, v89, v52 :: v_dual_mul_f32 v82, v91, v47
	v_fma_f32 v83, v98, v43, -v2
	v_dual_mul_f32 v2, v91, v46 :: v_dual_mul_f32 v27, v93, v51
	s_delay_alu instid0(VALU_DEP_3) | instskip(NEXT) | instid1(VALU_DEP_4)
	v_dual_fmac_f32 v81, v88, v52 :: v_dual_fmac_f32 v82, v90, v46
	v_fma_f32 v88, v88, v53, -v3
	v_dual_mul_f32 v3, v93, v50 :: v_dual_mul_f32 v26, v95, v29
	s_delay_alu instid0(VALU_DEP_4) | instskip(SKIP_2) | instid1(VALU_DEP_4)
	v_dual_mul_f32 v12, v95, v28 :: v_dual_fmac_f32 v27, v92, v50
	v_fma_f32 v89, v90, v47, -v2
	v_add_f32_e32 v2, v73, v74
	v_fma_f32 v24, v92, v51, -v3
	v_fmac_f32_e32 v26, v94, v28
	v_fma_f32 v25, v94, v29, -v12
	v_mul_f32_e32 v29, v85, v55
	v_dual_mul_f32 v3, v85, v54 :: v_dual_add_f32 v12, v8, v72
	v_mul_f32_e32 v85, v87, v17
	v_fma_f32 v2, -0.5, v2, v8
	v_sub_f32_e32 v15, v68, v61
	v_fmac_f32_e32 v29, v84, v54
	v_fma_f32 v28, v84, v55, -v3
	v_dual_fmac_f32 v85, v86, v16 :: v_dual_sub_f32 v14, v72, v73
	v_dual_add_f32 v3, v12, v73 :: v_dual_sub_f32 v30, v13, v74
	v_dual_fmamk_f32 v12, v15, 0xbf737871, v2 :: v_dual_add_f32 v33, v72, v13
	v_mul_f32_e32 v16, v87, v16
	s_delay_alu instid0(VALU_DEP_3) | instskip(NEXT) | instid1(VALU_DEP_4)
	v_add_f32_e32 v3, v3, v74
	v_add_f32_e32 v34, v14, v30
	s_delay_alu instid0(VALU_DEP_4)
	v_fmac_f32_e32 v12, 0xbf167918, v32
	v_fma_f32 v14, -0.5, v33, v8
	v_fma_f32 v30, v86, v17, -v16
	v_dual_add_f32 v8, v3, v13 :: v_dual_add_f32 v33, v9, v68
	v_dual_fmac_f32 v2, 0x3f737871, v15 :: v_dual_sub_f32 v17, v74, v13
	v_dual_sub_f32 v3, v73, v72 :: v_dual_fmac_f32 v12, 0x3e9e377a, v34
	v_dual_add_f32 v35, v69, v31 :: v_dual_fmamk_f32 v16, v32, 0x3f737871, v14
	s_delay_alu instid0(VALU_DEP_2) | instskip(SKIP_1) | instid1(VALU_DEP_3)
	v_dual_fmac_f32 v2, 0x3f167918, v32 :: v_dual_add_f32 v17, v3, v17
	v_fmac_f32_e32 v14, 0xbf737871, v32
	v_fma_f32 v3, -0.5, v35, v9
	s_delay_alu instid0(VALU_DEP_4) | instskip(SKIP_2) | instid1(VALU_DEP_3)
	v_dual_sub_f32 v35, v72, v13 :: v_dual_fmac_f32 v16, 0xbf167918, v15
	v_add_f32_e32 v32, v33, v69
	v_sub_f32_e32 v33, v73, v74
	v_dual_sub_f32 v36, v61, v31 :: v_dual_fmamk_f32 v13, v35, 0x3f737871, v3
	v_dual_fmac_f32 v14, 0x3f167918, v15 :: v_dual_add_f32 v15, v68, v61
	v_fmac_f32_e32 v3, 0xbf737871, v35
	v_add_f32_e32 v37, v10, v60
	s_delay_alu instid0(VALU_DEP_4) | instskip(NEXT) | instid1(VALU_DEP_4)
	v_fmac_f32_e32 v13, 0x3f167918, v33
	v_fmac_f32_e32 v14, 0x3e9e377a, v17
	v_fma_f32 v15, -0.5, v15, v9
	v_add_f32_e32 v32, v32, v31
	v_fmac_f32_e32 v2, 0x3e9e377a, v34
	v_sub_f32_e32 v34, v68, v69
	v_sub_f32_e32 v31, v31, v61
	v_fmac_f32_e32 v3, 0xbf167918, v33
	v_add_f32_e32 v9, v32, v61
	v_dual_sub_f32 v39, v62, v59 :: v_dual_add_f32 v40, v60, v62
	v_add_f32_e32 v32, v34, v36
	v_fmac_f32_e32 v16, 0x3e9e377a, v17
	v_fmamk_f32 v17, v33, 0xbf737871, v15
	v_sub_f32_e32 v34, v69, v68
	s_delay_alu instid0(VALU_DEP_4) | instskip(SKIP_1) | instid1(VALU_DEP_4)
	v_dual_add_f32 v36, v57, v59 :: v_dual_fmac_f32 v3, 0x3e9e377a, v32
	v_fmac_f32_e32 v13, 0x3e9e377a, v32
	v_fmac_f32_e32 v17, 0x3f167918, v35
	s_delay_alu instid0(VALU_DEP_4) | instskip(NEXT) | instid1(VALU_DEP_4)
	v_dual_add_f32 v34, v34, v31 :: v_dual_fmac_f32 v15, 0x3f737871, v33
	v_fma_f32 v31, -0.5, v36, v10
	v_sub_f32_e32 v36, v56, v64
	s_delay_alu instid0(VALU_DEP_3) | instskip(SKIP_2) | instid1(VALU_DEP_4)
	v_dual_sub_f32 v38, v58, v63 :: v_dual_fmac_f32 v17, 0x3e9e377a, v34
	v_add_f32_e32 v32, v37, v57
	v_sub_f32_e32 v37, v60, v57
	v_fmamk_f32 v33, v36, 0xbf737871, v31
	v_fmac_f32_e32 v15, 0xbf167918, v35
	v_fma_f32 v10, -0.5, v40, v10
	v_add_f32_e32 v32, v32, v59
	v_add_f32_e32 v39, v37, v39
	v_dual_fmac_f32 v33, 0xbf167918, v38 :: v_dual_add_f32 v40, v11, v56
	s_delay_alu instid0(VALU_DEP_4)
	v_fmamk_f32 v37, v38, 0x3f737871, v10
	v_dual_add_f32 v41, v58, v63 :: v_dual_fmac_f32 v10, 0xbf737871, v38
	v_dual_add_f32 v35, v32, v62 :: v_dual_sub_f32 v32, v57, v60
	v_fmac_f32_e32 v15, 0x3e9e377a, v34
	v_dual_sub_f32 v34, v59, v62 :: v_dual_fmac_f32 v31, 0x3f737871, v36
	v_fmac_f32_e32 v33, 0x3e9e377a, v39
	v_fmac_f32_e32 v10, 0x3f167918, v36
	v_dual_add_f32 v44, v66, v67 :: v_dual_add_f32 v45, v4, v65
	s_delay_alu instid0(VALU_DEP_4)
	v_add_f32_e32 v42, v32, v34
	v_add_f32_e32 v34, v40, v58
	v_fmac_f32_e32 v31, 0x3f167918, v38
	v_fma_f32 v32, -0.5, v41, v11
	v_sub_f32_e32 v40, v60, v62
	v_add_f32_e32 v38, v56, v64
	v_dual_sub_f32 v43, v64, v63 :: v_dual_fmac_f32 v10, 0x3e9e377a, v42
	v_dual_fmac_f32 v37, 0xbf167918, v36 :: v_dual_add_f32 v36, v34, v63
	v_fmac_f32_e32 v31, 0x3e9e377a, v39
	v_dual_fmamk_f32 v34, v40, 0x3f737871, v32 :: v_dual_sub_f32 v41, v57, v59
	v_sub_f32_e32 v39, v56, v58
	v_dual_fmac_f32 v11, -0.5, v38 :: v_dual_fmac_f32 v32, 0xbf737871, v40
	v_dual_fmac_f32 v37, 0x3e9e377a, v42 :: v_dual_add_f32 v36, v36, v64
	s_delay_alu instid0(VALU_DEP_4) | instskip(NEXT) | instid1(VALU_DEP_4)
	v_fmac_f32_e32 v34, 0x3f167918, v41
	v_add_f32_e32 v42, v39, v43
	s_delay_alu instid0(VALU_DEP_4) | instskip(SKIP_2) | instid1(VALU_DEP_4)
	v_dual_fmamk_f32 v38, v41, 0xbf737871, v11 :: v_dual_sub_f32 v39, v58, v56
	v_sub_f32_e32 v43, v63, v64
	v_fmac_f32_e32 v11, 0x3f737871, v41
	v_fmac_f32_e32 v34, 0x3e9e377a, v42
	;; [unrolled: 1-line block ×3, first 2 shown]
	v_sub_f32_e32 v46, v71, v77
	v_add_f32_e32 v43, v39, v43
	v_fmac_f32_e32 v11, 0xbf167918, v40
	v_fma_f32 v39, -0.5, v44, v4
	v_sub_f32_e32 v44, v70, v78
	v_dual_fmac_f32 v32, 0x3e9e377a, v42 :: v_dual_sub_f32 v47, v75, v67
	v_add_f32_e32 v42, v45, v66
	v_dual_fmac_f32 v38, 0x3f167918, v40 :: v_dual_sub_f32 v45, v65, v66
	s_delay_alu instid0(VALU_DEP_4) | instskip(NEXT) | instid1(VALU_DEP_3)
	v_dual_fmamk_f32 v41, v44, 0xbf737871, v39 :: v_dual_add_f32 v48, v65, v75
	v_dual_add_f32 v40, v42, v67 :: v_dual_fmac_f32 v39, 0x3f737871, v44
	v_fmac_f32_e32 v11, 0x3e9e377a, v43
	s_delay_alu instid0(VALU_DEP_3) | instskip(NEXT) | instid1(VALU_DEP_4)
	v_fmac_f32_e32 v41, 0xbf167918, v46
	v_fma_f32 v4, -0.5, v48, v4
	v_add_f32_e32 v42, v45, v47
	v_dual_sub_f32 v47, v67, v75 :: v_dual_add_f32 v48, v5, v70
	v_fmac_f32_e32 v39, 0x3f167918, v46
	s_delay_alu instid0(VALU_DEP_4) | instskip(NEXT) | instid1(VALU_DEP_4)
	v_fmamk_f32 v45, v46, 0x3f737871, v4
	v_dual_fmac_f32 v38, 0x3e9e377a, v43 :: v_dual_fmac_f32 v41, 0x3e9e377a, v42
	v_dual_add_f32 v43, v40, v75 :: v_dual_sub_f32 v40, v66, v65
	v_dual_add_f32 v49, v71, v77 :: v_dual_fmac_f32 v4, 0xbf737871, v46
	v_add_f32_e32 v46, v48, v71
	v_dual_sub_f32 v48, v65, v75 :: v_dual_fmac_f32 v45, 0xbf167918, v44
	s_delay_alu instid0(VALU_DEP_3) | instskip(NEXT) | instid1(VALU_DEP_4)
	v_dual_add_f32 v47, v40, v47 :: v_dual_fmac_f32 v4, 0x3f167918, v44
	v_fma_f32 v40, -0.5, v49, v5
	s_delay_alu instid0(VALU_DEP_4) | instskip(NEXT) | instid1(VALU_DEP_3)
	v_add_f32_e32 v44, v46, v77
	v_dual_add_f32 v46, v70, v78 :: v_dual_fmac_f32 v45, 0x3e9e377a, v47
	v_dual_fmac_f32 v39, 0x3e9e377a, v42 :: v_dual_sub_f32 v50, v70, v71
	s_delay_alu instid0(VALU_DEP_4) | instskip(SKIP_1) | instid1(VALU_DEP_4)
	v_dual_fmamk_f32 v42, v48, 0x3f737871, v40 :: v_dual_sub_f32 v49, v66, v67
	v_dual_sub_f32 v51, v78, v77 :: v_dual_fmac_f32 v4, 0x3e9e377a, v47
	v_fma_f32 v5, -0.5, v46, v5
	s_delay_alu instid0(VALU_DEP_3) | instskip(NEXT) | instid1(VALU_DEP_3)
	v_dual_sub_f32 v47, v71, v70 :: v_dual_fmac_f32 v42, 0x3f167918, v49
	v_dual_add_f32 v50, v50, v51 :: v_dual_sub_f32 v51, v77, v78
	s_delay_alu instid0(VALU_DEP_3) | instskip(SKIP_1) | instid1(VALU_DEP_3)
	v_dual_fmamk_f32 v46, v49, 0xbf737871, v5 :: v_dual_add_f32 v53, v6, v76
	v_dual_fmac_f32 v5, 0x3f737871, v49 :: v_dual_add_f32 v44, v44, v78
	v_dual_add_f32 v51, v47, v51 :: v_dual_add_f32 v52, v80, v81
	v_sub_f32_e32 v54, v83, v88
	s_delay_alu instid0(VALU_DEP_3) | instskip(SKIP_3) | instid1(VALU_DEP_4)
	v_fmac_f32_e32 v5, 0xbf167918, v48
	v_fmac_f32_e32 v42, 0x3e9e377a, v50
	v_dual_fmac_f32 v46, 0x3f167918, v48 :: v_dual_sub_f32 v55, v82, v81
	v_fma_f32 v47, -0.5, v52, v6
	v_dual_sub_f32 v52, v79, v89 :: v_dual_fmac_f32 v5, 0x3e9e377a, v51
	v_fmac_f32_e32 v40, 0xbf737871, v48
	v_dual_add_f32 v56, v76, v82 :: v_dual_add_f32 v57, v83, v88
	v_dual_sub_f32 v58, v79, v83 :: v_dual_sub_f32 v59, v89, v88
	s_delay_alu instid0(VALU_DEP_3) | instskip(SKIP_4) | instid1(VALU_DEP_4)
	v_fmac_f32_e32 v40, 0xbf167918, v49
	v_fmamk_f32 v49, v52, 0xbf737871, v47
	v_fmac_f32_e32 v47, 0x3f737871, v52
	v_fma_f32 v6, -0.5, v56, v6
	v_dual_add_f32 v60, v26, v29 :: v_dual_sub_f32 v61, v27, v26
	v_fmac_f32_e32 v49, 0xbf167918, v54
	v_fmac_f32_e32 v40, 0x3e9e377a, v50
	v_add_f32_e32 v50, v53, v80
	v_dual_sub_f32 v53, v76, v80 :: v_dual_sub_f32 v62, v85, v29
	v_add_f32_e32 v63, v27, v85
	s_delay_alu instid0(VALU_DEP_3) | instskip(NEXT) | instid1(VALU_DEP_3)
	v_add_f32_e32 v48, v50, v81
	v_add_f32_e32 v50, v53, v55
	v_dual_sub_f32 v55, v81, v82 :: v_dual_fmac_f32 v46, 0x3e9e377a, v51
	v_add_f32_e32 v61, v61, v62
	s_delay_alu instid0(VALU_DEP_4) | instskip(NEXT) | instid1(VALU_DEP_4)
	v_add_f32_e32 v51, v48, v82
	v_fmac_f32_e32 v49, 0x3e9e377a, v50
	v_dual_fmamk_f32 v53, v54, 0x3f737871, v6 :: v_dual_sub_f32 v48, v80, v76
	v_dual_fmac_f32 v47, 0x3f167918, v54 :: v_dual_add_f32 v56, v7, v79
	v_fmac_f32_e32 v6, 0xbf737871, v54
	s_delay_alu instid0(VALU_DEP_3) | instskip(NEXT) | instid1(VALU_DEP_4)
	v_fmac_f32_e32 v53, 0xbf167918, v52
	v_add_f32_e32 v55, v48, v55
	v_fma_f32 v48, -0.5, v57, v7
	v_dual_add_f32 v54, v56, v83 :: v_dual_fmac_f32 v47, 0x3e9e377a, v50
	s_delay_alu instid0(VALU_DEP_3) | instskip(SKIP_1) | instid1(VALU_DEP_3)
	v_dual_sub_f32 v56, v76, v82 :: v_dual_fmac_f32 v53, 0x3e9e377a, v55
	v_dual_fmac_f32 v6, 0x3f167918, v52 :: v_dual_sub_f32 v57, v80, v81
	v_add_f32_e32 v52, v54, v88
	v_add_f32_e32 v54, v79, v89
	s_delay_alu instid0(VALU_DEP_4) | instskip(NEXT) | instid1(VALU_DEP_4)
	v_fmamk_f32 v50, v56, 0x3f737871, v48
	v_fmac_f32_e32 v6, 0x3e9e377a, v55
	v_sub_f32_e32 v55, v83, v79
	s_delay_alu instid0(VALU_DEP_4) | instskip(SKIP_3) | instid1(VALU_DEP_4)
	v_dual_sub_f32 v62, v26, v27 :: v_dual_fmac_f32 v7, -0.5, v54
	v_add_f32_e32 v52, v52, v89
	v_dual_add_f32 v58, v58, v59 :: v_dual_sub_f32 v59, v88, v89
	v_fmac_f32_e32 v50, 0x3f167918, v57
	v_fmamk_f32 v54, v57, 0xbf737871, v7
	v_fmac_f32_e32 v7, 0x3f737871, v57
	s_delay_alu instid0(VALU_DEP_4) | instskip(SKIP_1) | instid1(VALU_DEP_4)
	v_add_f32_e32 v59, v55, v59
	v_fma_f32 v55, -0.5, v60, v0
	v_fmac_f32_e32 v54, 0x3f167918, v56
	v_sub_f32_e32 v60, v24, v30
	v_fmac_f32_e32 v48, 0xbf737871, v56
	v_fmac_f32_e32 v7, 0xbf167918, v56
	;; [unrolled: 1-line block ×3, first 2 shown]
	s_delay_alu instid0(VALU_DEP_3) | instskip(SKIP_3) | instid1(VALU_DEP_4)
	v_dual_fmac_f32 v48, 0xbf167918, v57 :: v_dual_add_f32 v57, v0, v27
	v_fma_f32 v0, -0.5, v63, v0
	v_sub_f32_e32 v27, v27, v85
	v_sub_f32_e32 v63, v29, v85
	v_dual_fmac_f32 v7, 0x3e9e377a, v59 :: v_dual_add_f32 v56, v57, v26
	v_dual_fmamk_f32 v57, v60, 0xbf737871, v55 :: v_dual_sub_f32 v26, v26, v29
	s_delay_alu instid0(VALU_DEP_3) | instskip(NEXT) | instid1(VALU_DEP_3)
	v_dual_add_f32 v62, v62, v63 :: v_dual_add_f32 v63, v24, v30
	v_add_f32_e32 v56, v56, v29
	v_fmac_f32_e32 v48, 0x3e9e377a, v58
	v_sub_f32_e32 v58, v25, v28
	s_delay_alu instid0(VALU_DEP_1) | instskip(NEXT) | instid1(VALU_DEP_1)
	v_fmac_f32_e32 v57, 0xbf167918, v58
	v_fmac_f32_e32 v57, 0x3e9e377a, v61
	;; [unrolled: 1-line block ×3, first 2 shown]
	s_delay_alu instid0(VALU_DEP_1) | instskip(NEXT) | instid1(VALU_DEP_1)
	v_fmac_f32_e32 v55, 0x3f167918, v58
	v_dual_fmac_f32 v54, 0x3e9e377a, v59 :: v_dual_fmac_f32 v55, 0x3e9e377a, v61
	v_fmamk_f32 v61, v58, 0x3f737871, v0
	v_dual_fmac_f32 v0, 0xbf737871, v58 :: v_dual_add_f32 v59, v56, v85
	v_add_f32_e32 v56, v25, v28
	s_delay_alu instid0(VALU_DEP_3) | instskip(SKIP_1) | instid1(VALU_DEP_4)
	v_fmac_f32_e32 v61, 0xbf167918, v60
	v_add_f32_e32 v58, v1, v24
	v_fmac_f32_e32 v0, 0x3f167918, v60
	s_delay_alu instid0(VALU_DEP_4) | instskip(SKIP_1) | instid1(VALU_DEP_4)
	v_fma_f32 v56, -0.5, v56, v1
	v_fmac_f32_e32 v1, -0.5, v63
	v_dual_fmac_f32 v61, 0x3e9e377a, v62 :: v_dual_add_f32 v60, v58, v25
	s_delay_alu instid0(VALU_DEP_3) | instskip(NEXT) | instid1(VALU_DEP_2)
	v_dual_sub_f32 v63, v30, v28 :: v_dual_fmamk_f32 v58, v27, 0x3f737871, v56
	v_dual_fmac_f32 v56, 0xbf737871, v27 :: v_dual_add_f32 v29, v60, v28
	v_sub_f32_e32 v60, v24, v25
	v_dual_sub_f32 v24, v25, v24 :: v_dual_sub_f32 v25, v28, v30
	s_delay_alu instid0(VALU_DEP_1) | instskip(SKIP_4) | instid1(VALU_DEP_3)
	v_add_f32_e32 v24, v24, v25
	v_fmac_f32_e32 v0, 0x3e9e377a, v62
	v_fmamk_f32 v62, v26, 0xbf737871, v1
	v_dual_fmac_f32 v1, 0x3f737871, v26 :: v_dual_add_f32 v28, v60, v63
	v_add_f32_e32 v60, v29, v30
	v_fmac_f32_e32 v62, 0x3f167918, v27
	s_delay_alu instid0(VALU_DEP_3) | instskip(SKIP_2) | instid1(VALU_DEP_4)
	v_fmac_f32_e32 v1, 0xbf167918, v27
	v_fmac_f32_e32 v58, 0x3f167918, v26
	;; [unrolled: 1-line block ×4, first 2 shown]
	s_delay_alu instid0(VALU_DEP_4) | instskip(NEXT) | instid1(VALU_DEP_4)
	v_fmac_f32_e32 v1, 0x3e9e377a, v24
	v_fmac_f32_e32 v58, 0x3e9e377a, v28
	s_delay_alu instid0(VALU_DEP_4)
	v_fmac_f32_e32 v56, 0x3e9e377a, v28
	ds_store_b64 v209, v[12:13] offset:2240
	ds_store_b64 v209, v[16:17] offset:4480
	;; [unrolled: 1-line block ×4, first 2 shown]
	ds_store_2addr_b64 v209, v[8:9], v[35:36] offset1:56
	ds_store_2addr_b64 v21, v[33:34], v[41:42] offset0:80 offset1:136
	ds_store_2addr_b64 v18, v[37:38], v[45:46] offset0:104 offset1:160
	;; [unrolled: 1-line block ×5, first 2 shown]
	ds_store_b64 v209, v[47:48] offset:10304
	ds_store_b64 v209, v[53:54] offset:5824
	;; [unrolled: 1-line block ×4, first 2 shown]
	ds_store_2addr_b64 v21, v[49:50], v[57:58] offset0:192 offset1:248
	ds_store_b64 v209, v[61:62] offset:6272
	ds_store_b64 v209, v[0:1] offset:8512
	;; [unrolled: 1-line block ×3, first 2 shown]
	global_wb scope:SCOPE_SE
	s_wait_dscnt 0x0
	s_barrier_signal -1
	s_barrier_wait -1
	global_inv scope:SCOPE_SE
	ds_load_2addr_b64 v[0:3], v209 offset1:56
	ds_load_2addr_b64 v[8:11], v209 offset0:112 offset1:168
	v_mad_co_u64_u32 v[36:37], null, s4, v211, 0
	s_wait_dscnt 0x1
	v_mul_f32_e32 v4, v202, v1
	s_wait_dscnt 0x0
	v_mul_f32_e32 v35, v190, v10
	v_mul_f32_e32 v26, v198, v3
	;; [unrolled: 1-line block ×4, first 2 shown]
	v_fmac_f32_e32 v4, v201, v0
	v_mul_f32_e32 v0, v202, v0
	v_fma_f32 v38, v189, v11, -v35
	v_mul_f32_e32 v27, v198, v2
	v_fmac_f32_e32 v26, v197, v2
	v_cvt_f64_f32_e32 v[12:13], v4
	ds_load_2addr_b64 v[4:7], v18 offset0:188 offset1:244
	v_fma_f32 v16, v201, v1, -v0
	v_fmac_f32_e32 v30, v193, v8
	v_fmac_f32_e32 v34, v189, v10
	v_cvt_f64_f32_e32 v[38:39], v38
	v_fma_f32 v27, v197, v3, -v27
	v_cvt_f64_f32_e32 v[16:17], v16
	v_cvt_f64_f32_e32 v[2:3], v26
	;; [unrolled: 1-line block ×4, first 2 shown]
	v_mul_f32_e32 v8, v194, v8
	v_cvt_f64_f32_e32 v[26:27], v27
	v_mad_co_u64_u32 v[10:11], null, s6, v170, 0
	s_delay_alu instid0(VALU_DEP_3)
	v_fma_f32 v8, v193, v9, -v8
	s_wait_dscnt 0x0
	v_mul_f32_e32 v24, v200, v5
	v_mul_f32_e32 v25, v200, v4
	;; [unrolled: 1-line block ×4, first 2 shown]
	v_cvt_f64_f32_e32 v[8:9], v8
	v_fmac_f32_e32 v24, v199, v4
	v_fma_f32 v25, v199, v5, -v25
	v_fmac_f32_e32 v28, v195, v6
	v_fma_f32 v29, v195, v7, -v29
	s_delay_alu instid0(VALU_DEP_4) | instskip(NEXT) | instid1(VALU_DEP_4)
	v_cvt_f64_f32_e32 v[4:5], v24
	v_cvt_f64_f32_e32 v[24:25], v25
	s_delay_alu instid0(VALU_DEP_4) | instskip(NEXT) | instid1(VALU_DEP_4)
	v_cvt_f64_f32_e32 v[6:7], v28
	v_cvt_f64_f32_e32 v[28:29], v29
	s_wait_alu 0xfffe
	v_mul_f64_e32 v[0:1], s[2:3], v[12:13]
	ds_load_2addr_b64 v[12:15], v22 offset0:44 offset1:100
	v_mul_f64_e32 v[16:17], s[2:3], v[16:17]
	v_mul_f64_e32 v[30:31], s[2:3], v[30:31]
	;; [unrolled: 1-line block ×4, first 2 shown]
	s_wait_dscnt 0x0
	v_mul_f32_e32 v32, v192, v13
	v_mul_f32_e32 v33, v192, v12
	v_mul_f64_e32 v[46:47], s[2:3], v[8:9]
	s_delay_alu instid0(VALU_DEP_3) | instskip(NEXT) | instid1(VALU_DEP_3)
	v_fmac_f32_e32 v32, v191, v12
	v_fma_f32 v33, v191, v13, -v33
	s_delay_alu instid0(VALU_DEP_2) | instskip(NEXT) | instid1(VALU_DEP_2)
	v_cvt_f64_f32_e32 v[12:13], v32
	v_cvt_f64_f32_e32 v[32:33], v33
	v_mul_f64_e32 v[4:5], s[2:3], v[4:5]
	v_mul_f64_e32 v[28:29], s[2:3], v[28:29]
	;; [unrolled: 1-line block ×4, first 2 shown]
	ds_load_2addr_b64 v[6:9], v22 offset0:156 offset1:212
	v_cvt_f32_f64_e32 v26, v[26:27]
	v_mad_co_u64_u32 v[40:41], null, s7, v170, v[11:12]
	v_mad_co_u64_u32 v[41:42], null, s5, v211, v[37:38]
	v_mul_f64_e32 v[42:43], s[2:3], v[2:3]
	v_mul_f64_e32 v[12:13], s[2:3], v[12:13]
	;; [unrolled: 1-line block ×3, first 2 shown]
	v_mul_f32_e32 v2, v188, v15
	v_mov_b32_e32 v11, v40
	v_cvt_f32_f64_e32 v40, v[0:1]
	v_dual_mul_f32 v0, v188, v14 :: v_dual_mov_b32 v37, v41
	s_delay_alu instid0(VALU_DEP_4) | instskip(SKIP_2) | instid1(VALU_DEP_4)
	v_fmac_f32_e32 v2, v187, v14
	v_cvt_f32_f64_e32 v41, v[16:17]
	v_cvt_f32_f64_e32 v28, v[28:29]
	v_fma_f32 v3, v187, v15, -v0
	v_lshlrev_b64_e32 v[0:1], 3, v[10:11]
	v_mul_f64_e32 v[10:11], s[2:3], v[38:39]
	v_cvt_f64_f32_e32 v[14:15], v2
	v_cvt_f32_f64_e32 v38, v[4:5]
	v_cvt_f64_f32_e32 v[16:17], v3
	v_lshlrev_b64_e32 v[2:3], 3, v[36:37]
	v_add_co_u32 v0, s0, s8, v0
	s_wait_alu 0xf1ff
	v_add_co_ci_u32_e64 v1, s0, s9, v1, s0
	v_cvt_f32_f64_e32 v29, v[30:31]
	s_delay_alu instid0(VALU_DEP_3) | instskip(SKIP_1) | instid1(VALU_DEP_3)
	v_add_co_u32 v36, s0, v0, v2
	s_wait_alu 0xf1ff
	v_add_co_ci_u32_e64 v37, s0, v1, v3, s0
	ds_load_2addr_b64 v[2:5], v23 offset0:96 offset1:152
	v_cvt_f32_f64_e32 v39, v[24:25]
	v_cvt_f32_f64_e32 v27, v[44:45]
	s_wait_dscnt 0x1
	v_mul_f32_e32 v44, v182, v6
	s_mul_u64 s[0:1], s[4:5], 0x2bc
	v_cvt_f32_f64_e32 v30, v[46:47]
	s_wait_alu 0xfffe
	s_lshl_b64 s[6:7], s[0:1], 3
	s_wait_alu 0xfffe
	v_add_co_u32 v23, s0, v36, s6
	s_wait_alu 0xf1ff
	v_add_co_ci_u32_e64 v24, s0, s7, v37, s0
	v_cvt_f32_f64_e32 v31, v[12:13]
	v_cvt_f32_f64_e32 v32, v[32:33]
	;; [unrolled: 1-line block ×4, first 2 shown]
	v_mul_f32_e32 v35, v182, v7
	s_movk_i32 s0, 0xfd7c
	s_mov_b32 s1, -1
	s_wait_dscnt 0x0
	v_mul_f32_e32 v22, v184, v3
	v_dual_mul_f32 v48, v186, v5 :: v_dual_fmac_f32 v35, v181, v6
	s_wait_alu 0xfffe
	s_mul_u64 s[0:1], s[4:5], s[0:1]
	v_cvt_f32_f64_e32 v34, v[10:11]
	ds_load_2addr_b64 v[10:13], v21 offset0:80 offset1:136
	v_fmac_f32_e32 v22, v183, v2
	v_mul_f32_e32 v2, v184, v2
	v_fmac_f32_e32 v48, v185, v4
	v_mul_f32_e32 v4, v186, v4
	v_mul_f64_e32 v[14:15], s[2:3], v[14:15]
	v_cvt_f64_f32_e32 v[42:43], v22
	v_fma_f32 v2, v183, v3, -v2
	v_fma_f32 v3, v181, v7, -v44
	v_cvt_f64_f32_e32 v[48:49], v48
	s_wait_alu 0xfffe
	s_lshl_b64 s[8:9], s[0:1], 3
	v_cvt_f64_f32_e32 v[44:45], v35
	v_cvt_f64_f32_e32 v[6:7], v2
	v_fma_f32 v2, v185, v5, -v4
	v_mul_f32_e32 v4, v180, v8
	v_cvt_f64_f32_e32 v[46:47], v3
	v_mul_f32_e32 v3, v180, v9
	global_store_b64 v[36:37], v[40:41], off
	v_cvt_f64_f32_e32 v[50:51], v2
	v_fma_f32 v2, v179, v9, -v4
	s_wait_dscnt 0x0
	v_mul_f32_e32 v5, v178, v11
	v_dual_mul_f32 v22, v178, v10 :: v_dual_fmac_f32 v3, v179, v8
	s_wait_alu 0xfffe
	v_add_co_u32 v8, s0, v23, s8
	s_delay_alu instid0(VALU_DEP_3) | instskip(NEXT) | instid1(VALU_DEP_3)
	v_fmac_f32_e32 v5, v177, v10
	v_fma_f32 v4, v177, v11, -v22
	v_cvt_f64_f32_e32 v[52:53], v2
	s_wait_alu 0xf1ff
	v_add_co_ci_u32_e64 v9, s0, s9, v24, s0
	v_cvt_f64_f32_e32 v[54:55], v5
	v_cvt_f64_f32_e32 v[10:11], v3
	;; [unrolled: 1-line block ×3, first 2 shown]
	ds_load_2addr_b64 v[2:5], v20 offset0:12 offset1:68
	v_add_co_u32 v35, s0, v8, s6
	s_wait_alu 0xf1ff
	v_add_co_ci_u32_e64 v36, s0, s7, v9, s0
	v_mul_f64_e32 v[16:17], s[2:3], v[16:17]
	s_delay_alu instid0(VALU_DEP_3) | instskip(SKIP_1) | instid1(VALU_DEP_3)
	v_add_co_u32 v40, s0, v35, s8
	s_wait_alu 0xf1ff
	v_add_co_ci_u32_e64 v41, s0, s9, v36, s0
	global_store_b64 v[23:24], v[38:39], off
	v_add_co_u32 v22, s0, v40, s6
	s_wait_alu 0xf1ff
	v_add_co_ci_u32_e64 v23, s0, s7, v41, s0
	global_store_b64 v[8:9], v[25:26], off
	v_add_co_u32 v8, s0, v22, s8
	s_wait_alu 0xf1ff
	v_add_co_ci_u32_e64 v9, s0, s9, v23, s0
	s_clause 0x1
	global_store_b64 v[35:36], v[27:28], off
	global_store_b64 v[40:41], v[29:30], off
	;; [unrolled: 1-line block ×4, first 2 shown]
	s_wait_dscnt 0x0
	v_mul_f32_e32 v36, v176, v3
	v_mul_f64_e32 v[24:25], s[2:3], v[42:43]
	v_cvt_f32_f64_e32 v28, v[14:15]
	v_mul_f64_e32 v[14:15], s[2:3], v[48:49]
	v_mul_f32_e32 v38, v172, v13
	v_fmac_f32_e32 v36, v175, v2
	v_mul_f32_e32 v2, v176, v2
	v_dual_mul_f32 v39, v172, v12 :: v_dual_mul_f32 v42, v174, v5
	v_mul_f32_e32 v40, v174, v4
	v_fmac_f32_e32 v38, v171, v12
	s_delay_alu instid0(VALU_DEP_4) | instskip(NEXT) | instid1(VALU_DEP_4)
	v_fma_f32 v2, v175, v3, -v2
	v_fma_f32 v3, v171, v13, -v39
	v_fmac_f32_e32 v42, v173, v4
	v_fma_f32 v4, v173, v5, -v40
	v_mul_f64_e32 v[22:23], s[2:3], v[44:45]
	v_mul_f64_e32 v[30:31], s[2:3], v[52:53]
	;; [unrolled: 1-line block ×3, first 2 shown]
	v_cvt_f64_f32_e32 v[36:37], v36
	v_cvt_f64_f32_e32 v[38:39], v38
	;; [unrolled: 1-line block ×6, first 2 shown]
	ds_load_2addr_b64 v[2:5], v21 offset0:192 offset1:248
	v_mul_f64_e32 v[6:7], s[2:3], v[6:7]
	v_cvt_f32_f64_e32 v29, v[16:17]
	v_mul_f64_e32 v[16:17], s[2:3], v[50:51]
	v_mul_f64_e32 v[10:11], s[2:3], v[10:11]
	v_mul_f64_e32 v[34:35], s[2:3], v[56:57]
	v_mul_f64_e32 v[26:27], s[2:3], v[46:47]
	v_add_co_u32 v46, s0, v8, s6
	s_wait_alu 0xf1ff
	v_add_co_ci_u32_e64 v47, s0, s7, v9, s0
	s_delay_alu instid0(VALU_DEP_2) | instskip(SKIP_1) | instid1(VALU_DEP_2)
	v_add_co_u32 v48, s0, v46, s8
	s_wait_alu 0xf1ff
	v_add_co_ci_u32_e64 v49, s0, s9, v47, s0
	v_cvt_f32_f64_e32 v24, v[24:25]
	v_cvt_f32_f64_e32 v50, v[14:15]
	s_wait_dscnt 0x0
	v_mul_f32_e32 v14, v155, v3
	v_mul_f32_e32 v56, v159, v5
	s_delay_alu instid0(VALU_DEP_2) | instskip(SKIP_1) | instid1(VALU_DEP_3)
	v_dual_mul_f32 v57, v159, v4 :: v_dual_fmac_f32 v14, v154, v2
	v_mul_f32_e32 v2, v155, v2
	v_fmac_f32_e32 v56, v158, v4
	s_delay_alu instid0(VALU_DEP_3)
	v_fma_f32 v57, v158, v5, -v57
	v_cvt_f32_f64_e32 v22, v[22:23]
	v_cvt_f32_f64_e32 v55, v[30:31]
	;; [unrolled: 1-line block ×3, first 2 shown]
	v_mul_f64_e32 v[32:33], s[2:3], v[36:37]
	v_mul_f64_e32 v[36:37], s[2:3], v[38:39]
	;; [unrolled: 1-line block ×5, first 2 shown]
	v_cvt_f64_f32_e32 v[44:45], v14
	v_fma_f32 v2, v154, v3, -v2
	v_cvt_f32_f64_e32 v25, v[6:7]
	ds_load_2addr_b64 v[6:9], v20 offset0:124 offset1:180
	v_cvt_f32_f64_e32 v51, v[16:17]
	ds_load_2addr_b64 v[14:17], v19 offset0:108 offset1:164
	v_cvt_f32_f64_e32 v54, v[10:11]
	v_cvt_f32_f64_e32 v31, v[34:35]
	v_mul_f64_e32 v[34:35], s[2:3], v[12:13]
	ds_load_2addr_b64 v[10:13], v18 offset0:48 offset1:104
	v_cvt_f64_f32_e32 v[2:3], v2
	v_cvt_f32_f64_e32 v23, v[26:27]
	v_add_co_u32 v26, s0, v48, s6
	s_wait_alu 0xf1ff
	v_add_co_ci_u32_e64 v27, s0, s7, v49, s0
	global_store_b64 v[46:47], v[28:29], off
	v_add_co_u32 v52, s0, v26, s8
	s_wait_alu 0xf1ff
	v_add_co_ci_u32_e64 v53, s0, s9, v27, s0
	v_mad_co_u64_u32 v[28:29], null, s4, v210, 0
	s_wait_dscnt 0x2
	v_mul_f32_e32 v18, v169, v7
	v_mul_f32_e32 v19, v169, v6
	s_wait_dscnt 0x1
	v_mul_f32_e32 v62, v157, v15
	v_mul_f32_e32 v58, v163, v9
	v_dual_mul_f32 v59, v163, v8 :: v_dual_fmac_f32 v18, v168, v6
	s_wait_dscnt 0x0
	v_mul_f32_e32 v65, v165, v12
	v_fma_f32 v6, v168, v7, -v19
	v_mul_f32_e32 v60, v161, v11
	v_mul_f32_e32 v61, v161, v10
	v_cvt_f64_f32_e32 v[4:5], v18
	v_fmac_f32_e32 v62, v156, v14
	v_cvt_f64_f32_e32 v[6:7], v6
	v_mul_f32_e32 v14, v157, v14
	v_mul_f32_e32 v64, v165, v13
	v_mul_f64_e32 v[44:45], s[2:3], v[44:45]
	v_mul_f32_e32 v66, v167, v17
	v_mul_f32_e32 v67, v167, v16
	v_fmac_f32_e32 v58, v162, v8
	v_fma_f32 v59, v162, v9, -v59
	v_fmac_f32_e32 v60, v160, v10
	v_fma_f32 v61, v160, v11, -v61
	v_fma_f32 v14, v156, v15, -v14
	v_fmac_f32_e32 v64, v164, v12
	v_fma_f32 v65, v164, v13, -v65
	v_fmac_f32_e32 v66, v166, v16
	v_fma_f32 v67, v166, v17, -v67
	v_cvt_f64_f32_e32 v[18:19], v56
	v_cvt_f64_f32_e32 v[56:57], v57
	v_cvt_f64_f32_e32 v[8:9], v58
	v_cvt_f64_f32_e32 v[10:11], v59
	v_cvt_f64_f32_e32 v[58:59], v60
	v_cvt_f64_f32_e32 v[60:61], v61
	v_cvt_f64_f32_e32 v[62:63], v62
	v_cvt_f64_f32_e32 v[12:13], v14
	v_cvt_f64_f32_e32 v[14:15], v64
	v_cvt_f64_f32_e32 v[16:17], v65
	v_cvt_f64_f32_e32 v[64:65], v66
	v_cvt_f64_f32_e32 v[66:67], v67
	v_mul_f64_e32 v[2:3], s[2:3], v[2:3]
	v_add_co_u32 v20, s0, v52, s6
	s_wait_alu 0xf1ff
	v_add_co_ci_u32_e64 v21, s0, s7, v53, s0
	v_cvt_f32_f64_e32 v32, v[32:33]
	s_delay_alu instid0(VALU_DEP_3) | instskip(SKIP_1) | instid1(VALU_DEP_3)
	v_add_co_u32 v68, s0, v20, s8
	s_wait_alu 0xf1ff
	v_add_co_ci_u32_e64 v69, s0, s9, v21, s0
	global_store_b64 v[48:49], v[24:25], off
	global_store_b64 v[26:27], v[22:23], off
	;; [unrolled: 1-line block ×5, first 2 shown]
	v_mul_f64_e32 v[4:5], s[2:3], v[4:5]
	v_mul_f64_e32 v[6:7], s[2:3], v[6:7]
	v_cvt_f32_f64_e32 v33, v[34:35]
	v_cvt_f32_f64_e32 v21, v[44:45]
	v_add_co_u32 v34, s0, v68, s6
	s_wait_alu 0xf1ff
	v_add_co_ci_u32_e64 v35, s0, s7, v69, s0
	v_cvt_f32_f64_e32 v36, v[36:37]
	v_cvt_f32_f64_e32 v37, v[38:39]
	v_add_co_u32 v38, s0, v34, s8
	s_wait_alu 0xf1ff
	v_add_co_ci_u32_e64 v39, s0, s9, v35, s0
	v_cvt_f32_f64_e32 v40, v[40:41]
	v_mul_f64_e32 v[18:19], s[2:3], v[18:19]
	v_mul_f64_e32 v[56:57], s[2:3], v[56:57]
	;; [unrolled: 1-line block ×12, first 2 shown]
	v_cvt_f32_f64_e32 v41, v[42:43]
	v_add_co_u32 v42, s0, v38, s6
	s_wait_alu 0xf1ff
	v_add_co_ci_u32_e64 v43, s0, s7, v39, s0
	v_cvt_f32_f64_e32 v22, v[2:3]
	v_mov_b32_e32 v20, v29
	global_store_b64 v[34:35], v[32:33], off
	global_store_b64 v[38:39], v[36:37], off
	;; [unrolled: 1-line block ×3, first 2 shown]
	v_mad_co_u64_u32 v[46:47], null, 0x1c0, s4, v[42:43]
	v_mad_co_u64_u32 v[2:3], null, s5, v210, v[20:21]
	v_cvt_f32_f64_e32 v3, v[4:5]
	v_cvt_f32_f64_e32 v4, v[6:7]
	;; [unrolled: 1-line block ×4, first 2 shown]
	v_mov_b32_e32 v23, v47
	v_cvt_f32_f64_e32 v7, v[8:9]
	v_mov_b32_e32 v29, v2
	v_cvt_f32_f64_e32 v8, v[10:11]
	v_cvt_f32_f64_e32 v9, v[58:59]
	v_mad_co_u64_u32 v[23:24], null, 0x1c0, s5, v[23:24]
	v_cvt_f32_f64_e32 v10, v[60:61]
	v_cvt_f32_f64_e32 v11, v[62:63]
	;; [unrolled: 1-line block ×5, first 2 shown]
	v_lshlrev_b64_e32 v[17:18], 3, v[28:29]
	v_mov_b32_e32 v47, v23
	v_cvt_f32_f64_e32 v15, v[64:65]
	v_cvt_f32_f64_e32 v16, v[66:67]
	v_add_co_u32 v19, s0, v46, s8
	s_wait_alu 0xf1ff
	v_add_co_ci_u32_e64 v20, s0, s9, v47, s0
	v_add_co_u32 v0, s0, v0, v17
	s_wait_alu 0xf1ff
	v_add_co_ci_u32_e64 v1, s0, v1, v18, s0
	;; [unrolled: 3-line block ×3, first 2 shown]
	global_store_b64 v[0:1], v[21:22], off
	v_add_co_u32 v21, s0, v17, s8
	s_wait_alu 0xf1ff
	v_add_co_ci_u32_e64 v22, s0, s9, v18, s0
	s_delay_alu instid0(VALU_DEP_2) | instskip(SKIP_1) | instid1(VALU_DEP_2)
	v_add_co_u32 v23, s0, v21, s6
	s_wait_alu 0xf1ff
	v_add_co_ci_u32_e64 v24, s0, s7, v22, s0
	global_store_b64 v[46:47], v[3:4], off
	v_add_co_u32 v2, s0, v23, s8
	s_wait_alu 0xf1ff
	v_add_co_ci_u32_e64 v3, s0, s9, v24, s0
	global_store_b64 v[19:20], v[5:6], off
	;; [unrolled: 4-line block ×3, first 2 shown]
	global_store_b64 v[21:22], v[9:10], off
	global_store_b64 v[23:24], v[11:12], off
	;; [unrolled: 1-line block ×4, first 2 shown]
	s_and_b32 exec_lo, exec_lo, vcc_lo
	s_cbranch_execz .LBB0_39
; %bb.38:
	global_load_b64 v[2:3], v[152:153], off offset:5376
	ds_load_b64 v[4:5], v209 offset:5376
	ds_load_b64 v[6:7], v209 offset:10976
	v_add_co_u32 v0, vcc_lo, v0, s8
	s_wait_alu 0xfffd
	v_add_co_ci_u32_e32 v1, vcc_lo, s9, v1, vcc_lo
	s_wait_loadcnt_dscnt 0x1
	v_mul_f32_e32 v8, v5, v3
	v_mul_f32_e32 v3, v4, v3
	s_delay_alu instid0(VALU_DEP_2) | instskip(NEXT) | instid1(VALU_DEP_2)
	v_fmac_f32_e32 v8, v4, v2
	v_fma_f32 v4, v2, v5, -v3
	s_delay_alu instid0(VALU_DEP_2) | instskip(NEXT) | instid1(VALU_DEP_2)
	v_cvt_f64_f32_e32 v[2:3], v8
	v_cvt_f64_f32_e32 v[4:5], v4
	s_delay_alu instid0(VALU_DEP_2) | instskip(NEXT) | instid1(VALU_DEP_2)
	v_mul_f64_e32 v[2:3], s[2:3], v[2:3]
	v_mul_f64_e32 v[4:5], s[2:3], v[4:5]
	s_delay_alu instid0(VALU_DEP_2) | instskip(NEXT) | instid1(VALU_DEP_2)
	v_cvt_f32_f64_e32 v2, v[2:3]
	v_cvt_f32_f64_e32 v3, v[4:5]
	global_store_b64 v[0:1], v[2:3], off
	global_load_b64 v[2:3], v[152:153], off offset:10976
	v_add_co_u32 v0, vcc_lo, v0, s6
	s_wait_alu 0xfffd
	v_add_co_ci_u32_e32 v1, vcc_lo, s7, v1, vcc_lo
	s_wait_loadcnt_dscnt 0x0
	v_mul_f32_e32 v4, v7, v3
	v_mul_f32_e32 v3, v6, v3
	s_delay_alu instid0(VALU_DEP_2) | instskip(NEXT) | instid1(VALU_DEP_2)
	v_fmac_f32_e32 v4, v6, v2
	v_fma_f32 v5, v2, v7, -v3
	s_delay_alu instid0(VALU_DEP_2) | instskip(NEXT) | instid1(VALU_DEP_2)
	v_cvt_f64_f32_e32 v[2:3], v4
	v_cvt_f64_f32_e32 v[4:5], v5
	s_delay_alu instid0(VALU_DEP_2) | instskip(NEXT) | instid1(VALU_DEP_2)
	v_mul_f64_e32 v[2:3], s[2:3], v[2:3]
	v_mul_f64_e32 v[4:5], s[2:3], v[4:5]
	s_delay_alu instid0(VALU_DEP_2) | instskip(NEXT) | instid1(VALU_DEP_2)
	v_cvt_f32_f64_e32 v2, v[2:3]
	v_cvt_f32_f64_e32 v3, v[4:5]
	global_store_b64 v[0:1], v[2:3], off
.LBB0_39:
	s_nop 0
	s_sendmsg sendmsg(MSG_DEALLOC_VGPRS)
	s_endpgm
	.section	.rodata,"a",@progbits
	.p2align	6, 0x0
	.amdhsa_kernel bluestein_single_fwd_len1400_dim1_sp_op_CI_CI
		.amdhsa_group_segment_fixed_size 11200
		.amdhsa_private_segment_fixed_size 76
		.amdhsa_kernarg_size 104
		.amdhsa_user_sgpr_count 2
		.amdhsa_user_sgpr_dispatch_ptr 0
		.amdhsa_user_sgpr_queue_ptr 0
		.amdhsa_user_sgpr_kernarg_segment_ptr 1
		.amdhsa_user_sgpr_dispatch_id 0
		.amdhsa_user_sgpr_private_segment_size 0
		.amdhsa_wavefront_size32 1
		.amdhsa_uses_dynamic_stack 0
		.amdhsa_enable_private_segment 1
		.amdhsa_system_sgpr_workgroup_id_x 1
		.amdhsa_system_sgpr_workgroup_id_y 0
		.amdhsa_system_sgpr_workgroup_id_z 0
		.amdhsa_system_sgpr_workgroup_info 0
		.amdhsa_system_vgpr_workitem_id 0
		.amdhsa_next_free_vgpr 256
		.amdhsa_next_free_sgpr 16
		.amdhsa_reserve_vcc 1
		.amdhsa_float_round_mode_32 0
		.amdhsa_float_round_mode_16_64 0
		.amdhsa_float_denorm_mode_32 3
		.amdhsa_float_denorm_mode_16_64 3
		.amdhsa_fp16_overflow 0
		.amdhsa_workgroup_processor_mode 1
		.amdhsa_memory_ordered 1
		.amdhsa_forward_progress 0
		.amdhsa_round_robin_scheduling 0
		.amdhsa_exception_fp_ieee_invalid_op 0
		.amdhsa_exception_fp_denorm_src 0
		.amdhsa_exception_fp_ieee_div_zero 0
		.amdhsa_exception_fp_ieee_overflow 0
		.amdhsa_exception_fp_ieee_underflow 0
		.amdhsa_exception_fp_ieee_inexact 0
		.amdhsa_exception_int_div_zero 0
	.end_amdhsa_kernel
	.text
.Lfunc_end0:
	.size	bluestein_single_fwd_len1400_dim1_sp_op_CI_CI, .Lfunc_end0-bluestein_single_fwd_len1400_dim1_sp_op_CI_CI
                                        ; -- End function
	.section	.AMDGPU.csdata,"",@progbits
; Kernel info:
; codeLenInByte = 29540
; NumSgprs: 18
; NumVgprs: 256
; ScratchSize: 76
; MemoryBound: 0
; FloatMode: 240
; IeeeMode: 1
; LDSByteSize: 11200 bytes/workgroup (compile time only)
; SGPRBlocks: 2
; VGPRBlocks: 31
; NumSGPRsForWavesPerEU: 18
; NumVGPRsForWavesPerEU: 256
; Occupancy: 5
; WaveLimiterHint : 1
; COMPUTE_PGM_RSRC2:SCRATCH_EN: 1
; COMPUTE_PGM_RSRC2:USER_SGPR: 2
; COMPUTE_PGM_RSRC2:TRAP_HANDLER: 0
; COMPUTE_PGM_RSRC2:TGID_X_EN: 1
; COMPUTE_PGM_RSRC2:TGID_Y_EN: 0
; COMPUTE_PGM_RSRC2:TGID_Z_EN: 0
; COMPUTE_PGM_RSRC2:TIDIG_COMP_CNT: 0
	.text
	.p2alignl 7, 3214868480
	.fill 96, 4, 3214868480
	.type	__hip_cuid_18a867b9ca817b6e,@object ; @__hip_cuid_18a867b9ca817b6e
	.section	.bss,"aw",@nobits
	.globl	__hip_cuid_18a867b9ca817b6e
__hip_cuid_18a867b9ca817b6e:
	.byte	0                               ; 0x0
	.size	__hip_cuid_18a867b9ca817b6e, 1

	.ident	"AMD clang version 19.0.0git (https://github.com/RadeonOpenCompute/llvm-project roc-6.4.0 25133 c7fe45cf4b819c5991fe208aaa96edf142730f1d)"
	.section	".note.GNU-stack","",@progbits
	.addrsig
	.addrsig_sym __hip_cuid_18a867b9ca817b6e
	.amdgpu_metadata
---
amdhsa.kernels:
  - .args:
      - .actual_access:  read_only
        .address_space:  global
        .offset:         0
        .size:           8
        .value_kind:     global_buffer
      - .actual_access:  read_only
        .address_space:  global
        .offset:         8
        .size:           8
        .value_kind:     global_buffer
      - .actual_access:  read_only
        .address_space:  global
        .offset:         16
        .size:           8
        .value_kind:     global_buffer
      - .actual_access:  read_only
        .address_space:  global
        .offset:         24
        .size:           8
        .value_kind:     global_buffer
      - .actual_access:  read_only
        .address_space:  global
        .offset:         32
        .size:           8
        .value_kind:     global_buffer
      - .offset:         40
        .size:           8
        .value_kind:     by_value
      - .address_space:  global
        .offset:         48
        .size:           8
        .value_kind:     global_buffer
      - .address_space:  global
        .offset:         56
        .size:           8
        .value_kind:     global_buffer
      - .address_space:  global
        .offset:         64
        .size:           8
        .value_kind:     global_buffer
      - .address_space:  global
        .offset:         72
        .size:           8
        .value_kind:     global_buffer
      - .offset:         80
        .size:           4
        .value_kind:     by_value
      - .address_space:  global
        .offset:         88
        .size:           8
        .value_kind:     global_buffer
      - .address_space:  global
        .offset:         96
        .size:           8
        .value_kind:     global_buffer
    .group_segment_fixed_size: 11200
    .kernarg_segment_align: 8
    .kernarg_segment_size: 104
    .language:       OpenCL C
    .language_version:
      - 2
      - 0
    .max_flat_workgroup_size: 56
    .name:           bluestein_single_fwd_len1400_dim1_sp_op_CI_CI
    .private_segment_fixed_size: 76
    .sgpr_count:     18
    .sgpr_spill_count: 0
    .symbol:         bluestein_single_fwd_len1400_dim1_sp_op_CI_CI.kd
    .uniform_work_group_size: 1
    .uses_dynamic_stack: false
    .vgpr_count:     256
    .vgpr_spill_count: 18
    .wavefront_size: 32
    .workgroup_processor_mode: 1
amdhsa.target:   amdgcn-amd-amdhsa--gfx1201
amdhsa.version:
  - 1
  - 2
...

	.end_amdgpu_metadata
